;; amdgpu-corpus repo=ROCm/rccl kind=compiled arch=gfx1201 opt=O3
	.amdgcn_target "amdgcn-amd-amdhsa--gfx1201"
	.amdhsa_code_object_version 6
	.text
	.p2align	2                               ; -- Begin function __ockl_fprintf_append_string_n
	.type	__ockl_fprintf_append_string_n,@function
__ockl_fprintf_append_string_n:         ; @__ockl_fprintf_append_string_n
; %bb.0:
	s_wait_loadcnt_dscnt 0x0
	s_wait_expcnt 0x0
	s_wait_samplecnt 0x0
	s_wait_bvhcnt 0x0
	s_wait_kmcnt 0x0
	v_or_b32_e32 v2, 2, v0
	v_cmp_eq_u32_e32 vcc_lo, 0, v6
	v_mbcnt_lo_u32_b32 v37, -1, 0
	s_getpc_b64 s[0:1]
	s_wait_alu 0xfffe
	s_sext_i32_i16 s1, s1
	s_add_co_u32 s0, s0, .str.3@rel32@lo+12
	s_wait_alu 0xfffe
	s_add_co_ci_u32 s1, s1, .str.3@rel32@hi+24
	s_mov_b32 s6, 0
	s_wait_alu 0xfffe
	s_cmp_lg_u64 s[0:1], 0
	s_wait_alu 0xfffd
	v_cndmask_b32_e32 v36, v2, v0, vcc_lo
	s_cbranch_scc0 .LBB0_113
; %bb.1:
	s_load_b64 s[2:3], s[8:9], 0x50
	s_getpc_b64 s[0:1]
	s_wait_alu 0xfffe
	s_sext_i32_i16 s1, s1
	s_add_co_u32 s0, s0, .str.3@rel32@lo+12
	s_wait_alu 0xfffe
	s_add_co_ci_u32 s1, s1, .str.3@rel32@hi+24
	s_wait_alu 0xfffe
	v_dual_mov_b32 v3, s1 :: v_dual_and_b32 v0, -3, v36
	v_dual_mov_b32 v8, 2 :: v_dual_mov_b32 v11, v1
	v_dual_mov_b32 v7, 0 :: v_dual_and_b32 v38, 2, v36
	v_dual_mov_b32 v2, s0 :: v_dual_mov_b32 v9, 1
	s_delay_alu instid0(VALU_DEP_4)
	v_mov_b32_e32 v10, v0
	s_mov_b32 s7, 0
	s_branch .LBB0_3
.LBB0_2:                                ;   in Loop: Header=BB0_3 Depth=1
	s_wait_alu 0xfffe
	s_or_b32 exec_lo, exec_lo, s10
	v_sub_co_u32 v4, vcc_lo, v4, v30
	s_wait_alu 0xfffd
	v_sub_co_ci_u32_e64 v5, null, v5, v31, vcc_lo
	v_add_co_u32 v2, s0, v2, v30
	s_wait_alu 0xf1ff
	v_add_co_ci_u32_e64 v3, null, v3, v31, s0
	s_delay_alu instid0(VALU_DEP_3)
	v_cmp_eq_u64_e32 vcc_lo, 0, v[4:5]
	s_or_b32 s7, vcc_lo, s7
	s_wait_alu 0xfffe
	s_and_not1_b32 exec_lo, exec_lo, s7
	s_cbranch_execz .LBB0_85
.LBB0_3:                                ; =>This Loop Header: Depth=1
                                        ;     Child Loop BB0_6 Depth 2
                                        ;     Child Loop BB0_14 Depth 2
	;; [unrolled: 1-line block ×11, first 2 shown]
	v_cmp_gt_u64_e32 vcc_lo, 56, v[4:5]
	s_mov_b32 s1, exec_lo
	s_wait_alu 0xfffd
	v_dual_cndmask_b32 v31, 0, v5 :: v_dual_cndmask_b32 v30, 56, v4
	v_add_co_u32 v16, vcc_lo, v2, 8
	s_wait_alu 0xfffd
	v_add_co_ci_u32_e64 v17, null, 0, v3, vcc_lo
	v_cmpx_gt_u64_e32 8, v[4:5]
	s_wait_alu 0xfffe
	s_xor_b32 s1, exec_lo, s1
	s_cbranch_execz .LBB0_9
; %bb.4:                                ;   in Loop: Header=BB0_3 Depth=1
	s_wait_loadcnt 0x0
	v_mov_b32_e32 v12, 0
	v_mov_b32_e32 v13, 0
	s_mov_b32 s10, exec_lo
	v_cmpx_ne_u64_e32 0, v[4:5]
	s_cbranch_execz .LBB0_8
; %bb.5:                                ;   in Loop: Header=BB0_3 Depth=1
	v_lshlrev_b64_e32 v[14:15], 3, v[30:31]
	v_mov_b32_e32 v12, 0
	v_dual_mov_b32 v13, 0 :: v_dual_mov_b32 v16, v3
	v_mov_b32_e32 v15, v2
	s_mov_b64 s[4:5], 0
	s_mov_b32 s11, 0
.LBB0_6:                                ;   Parent Loop BB0_3 Depth=1
                                        ; =>  This Inner Loop Header: Depth=2
	global_load_u8 v0, v[15:16], off
	v_mov_b32_e32 v18, s6
	v_add_co_u32 v15, vcc_lo, v15, 1
	s_wait_alu 0xfffd
	v_add_co_ci_u32_e64 v16, null, 0, v16, vcc_lo
	s_wait_loadcnt 0x0
	v_and_b32_e32 v17, 0xffff, v0
	s_wait_alu 0xfffe
	s_delay_alu instid0(VALU_DEP_1) | instskip(SKIP_3) | instid1(VALU_DEP_2)
	v_lshlrev_b64_e32 v[17:18], s4, v[17:18]
	s_add_nc_u64 s[4:5], s[4:5], 8
	s_wait_alu 0xfffe
	v_cmp_eq_u32_e64 s0, s4, v14
	v_or_b32_e32 v13, v18, v13
	s_delay_alu instid0(VALU_DEP_3)
	v_or_b32_e32 v12, v17, v12
	s_or_b32 s11, s0, s11
	s_wait_alu 0xfffe
	s_and_not1_b32 exec_lo, exec_lo, s11
	s_cbranch_execnz .LBB0_6
; %bb.7:                                ;   in Loop: Header=BB0_3 Depth=1
	s_or_b32 exec_lo, exec_lo, s11
.LBB0_8:                                ;   in Loop: Header=BB0_3 Depth=1
	s_wait_alu 0xfffe
	s_or_b32 exec_lo, exec_lo, s10
	v_dual_mov_b32 v17, v3 :: v_dual_mov_b32 v16, v2
.LBB0_9:                                ;   in Loop: Header=BB0_3 Depth=1
	s_wait_alu 0xfffe
	s_or_saveexec_b32 s0, s1
	v_mov_b32_e32 v0, 0
	s_wait_alu 0xfffe
	s_xor_b32 exec_lo, exec_lo, s0
	s_cbranch_execz .LBB0_11
; %bb.10:                               ;   in Loop: Header=BB0_3 Depth=1
	s_wait_loadcnt 0x0
	global_load_b64 v[12:13], v[2:3], off
	v_add_nc_u32_e32 v0, -8, v30
.LBB0_11:                               ;   in Loop: Header=BB0_3 Depth=1
	s_or_b32 exec_lo, exec_lo, s0
	v_add_co_u32 v18, s0, v16, 8
	s_wait_alu 0xf1ff
	v_add_co_ci_u32_e64 v19, null, 0, v17, s0
                                        ; implicit-def: $vgpr14_vgpr15
	s_mov_b32 s0, exec_lo
	v_cmpx_gt_u32_e32 8, v0
	s_wait_alu 0xfffe
	s_xor_b32 s10, exec_lo, s0
	s_cbranch_execz .LBB0_17
; %bb.12:                               ;   in Loop: Header=BB0_3 Depth=1
	v_mov_b32_e32 v14, 0
	v_mov_b32_e32 v15, 0
	s_mov_b32 s11, exec_lo
	v_cmpx_ne_u32_e32 0, v0
	s_cbranch_execz .LBB0_16
; %bb.13:                               ;   in Loop: Header=BB0_3 Depth=1
	v_mov_b32_e32 v14, 0
	v_mov_b32_e32 v15, 0
	s_mov_b64 s[0:1], 0
	s_mov_b32 s12, 0
	s_mov_b64 s[4:5], 0
.LBB0_14:                               ;   Parent Loop BB0_3 Depth=1
                                        ; =>  This Inner Loop Header: Depth=2
	s_wait_alu 0xfffe
	v_add_co_u32 v18, vcc_lo, v16, s4
	s_wait_alu 0xfffd
	v_add_co_ci_u32_e64 v19, null, s5, v17, vcc_lo
	s_add_nc_u64 s[4:5], s[4:5], 1
	s_wait_alu 0xfffe
	v_cmp_eq_u32_e32 vcc_lo, s4, v0
	global_load_u8 v6, v[18:19], off
	v_mov_b32_e32 v19, s6
	s_or_b32 s12, vcc_lo, s12
	s_wait_loadcnt 0x0
	v_and_b32_e32 v18, 0xffff, v6
	s_delay_alu instid0(VALU_DEP_1) | instskip(SKIP_1) | instid1(VALU_DEP_1)
	v_lshlrev_b64_e32 v[18:19], s0, v[18:19]
	s_add_nc_u64 s[0:1], s[0:1], 8
	v_or_b32_e32 v15, v19, v15
	s_delay_alu instid0(VALU_DEP_2)
	v_or_b32_e32 v14, v18, v14
	s_wait_alu 0xfffe
	s_and_not1_b32 exec_lo, exec_lo, s12
	s_cbranch_execnz .LBB0_14
; %bb.15:                               ;   in Loop: Header=BB0_3 Depth=1
	s_or_b32 exec_lo, exec_lo, s12
.LBB0_16:                               ;   in Loop: Header=BB0_3 Depth=1
	s_wait_alu 0xfffe
	s_or_b32 exec_lo, exec_lo, s11
	v_dual_mov_b32 v19, v17 :: v_dual_mov_b32 v18, v16
                                        ; implicit-def: $vgpr0
.LBB0_17:                               ;   in Loop: Header=BB0_3 Depth=1
	s_wait_alu 0xfffe
	s_or_saveexec_b32 s0, s10
	v_mov_b32_e32 v6, 0
	s_wait_alu 0xfffe
	s_xor_b32 exec_lo, exec_lo, s0
	s_cbranch_execz .LBB0_19
; %bb.18:                               ;   in Loop: Header=BB0_3 Depth=1
	global_load_b64 v[14:15], v[16:17], off
	v_add_nc_u32_e32 v6, -8, v0
.LBB0_19:                               ;   in Loop: Header=BB0_3 Depth=1
	s_or_b32 exec_lo, exec_lo, s0
	v_add_co_u32 v20, s0, v18, 8
	s_wait_alu 0xf1ff
	v_add_co_ci_u32_e64 v21, null, 0, v19, s0
	s_mov_b32 s0, exec_lo
	v_cmpx_gt_u32_e32 8, v6
	s_wait_alu 0xfffe
	s_xor_b32 s10, exec_lo, s0
	s_cbranch_execz .LBB0_25
; %bb.20:                               ;   in Loop: Header=BB0_3 Depth=1
	v_mov_b32_e32 v16, 0
	v_mov_b32_e32 v17, 0
	s_mov_b32 s11, exec_lo
	v_cmpx_ne_u32_e32 0, v6
	s_cbranch_execz .LBB0_24
; %bb.21:                               ;   in Loop: Header=BB0_3 Depth=1
	v_mov_b32_e32 v16, 0
	v_mov_b32_e32 v17, 0
	s_mov_b64 s[0:1], 0
	s_mov_b32 s12, 0
	s_mov_b64 s[4:5], 0
.LBB0_22:                               ;   Parent Loop BB0_3 Depth=1
                                        ; =>  This Inner Loop Header: Depth=2
	s_wait_alu 0xfffe
	v_add_co_u32 v20, vcc_lo, v18, s4
	s_wait_alu 0xfffd
	v_add_co_ci_u32_e64 v21, null, s5, v19, vcc_lo
	s_add_nc_u64 s[4:5], s[4:5], 1
	s_wait_alu 0xfffe
	v_cmp_eq_u32_e32 vcc_lo, s4, v6
	global_load_u8 v0, v[20:21], off
	v_mov_b32_e32 v21, s6
	s_or_b32 s12, vcc_lo, s12
	s_wait_loadcnt 0x0
	v_and_b32_e32 v20, 0xffff, v0
	s_delay_alu instid0(VALU_DEP_1) | instskip(SKIP_1) | instid1(VALU_DEP_1)
	v_lshlrev_b64_e32 v[20:21], s0, v[20:21]
	s_add_nc_u64 s[0:1], s[0:1], 8
	v_or_b32_e32 v17, v21, v17
	s_delay_alu instid0(VALU_DEP_2)
	v_or_b32_e32 v16, v20, v16
	s_wait_alu 0xfffe
	s_and_not1_b32 exec_lo, exec_lo, s12
	s_cbranch_execnz .LBB0_22
; %bb.23:                               ;   in Loop: Header=BB0_3 Depth=1
	s_or_b32 exec_lo, exec_lo, s12
.LBB0_24:                               ;   in Loop: Header=BB0_3 Depth=1
	s_wait_alu 0xfffe
	s_or_b32 exec_lo, exec_lo, s11
	v_dual_mov_b32 v21, v19 :: v_dual_mov_b32 v20, v18
                                        ; implicit-def: $vgpr6
.LBB0_25:                               ;   in Loop: Header=BB0_3 Depth=1
	s_wait_alu 0xfffe
	s_or_saveexec_b32 s0, s10
	v_mov_b32_e32 v0, 0
	s_wait_alu 0xfffe
	s_xor_b32 exec_lo, exec_lo, s0
	s_cbranch_execz .LBB0_27
; %bb.26:                               ;   in Loop: Header=BB0_3 Depth=1
	global_load_b64 v[16:17], v[18:19], off
	v_add_nc_u32_e32 v0, -8, v6
.LBB0_27:                               ;   in Loop: Header=BB0_3 Depth=1
	s_or_b32 exec_lo, exec_lo, s0
	v_add_co_u32 v22, s0, v20, 8
	s_wait_alu 0xf1ff
	v_add_co_ci_u32_e64 v23, null, 0, v21, s0
                                        ; implicit-def: $vgpr18_vgpr19
	s_mov_b32 s0, exec_lo
	v_cmpx_gt_u32_e32 8, v0
	s_wait_alu 0xfffe
	s_xor_b32 s10, exec_lo, s0
	s_cbranch_execz .LBB0_33
; %bb.28:                               ;   in Loop: Header=BB0_3 Depth=1
	v_mov_b32_e32 v18, 0
	v_mov_b32_e32 v19, 0
	s_mov_b32 s11, exec_lo
	v_cmpx_ne_u32_e32 0, v0
	s_cbranch_execz .LBB0_32
; %bb.29:                               ;   in Loop: Header=BB0_3 Depth=1
	v_mov_b32_e32 v18, 0
	v_mov_b32_e32 v19, 0
	s_mov_b64 s[0:1], 0
	s_mov_b32 s12, 0
	s_mov_b64 s[4:5], 0
.LBB0_30:                               ;   Parent Loop BB0_3 Depth=1
                                        ; =>  This Inner Loop Header: Depth=2
	s_wait_alu 0xfffe
	v_add_co_u32 v22, vcc_lo, v20, s4
	s_wait_alu 0xfffd
	v_add_co_ci_u32_e64 v23, null, s5, v21, vcc_lo
	s_add_nc_u64 s[4:5], s[4:5], 1
	s_wait_alu 0xfffe
	v_cmp_eq_u32_e32 vcc_lo, s4, v0
	global_load_u8 v6, v[22:23], off
	v_mov_b32_e32 v23, s6
	s_or_b32 s12, vcc_lo, s12
	s_wait_loadcnt 0x0
	v_and_b32_e32 v22, 0xffff, v6
	s_delay_alu instid0(VALU_DEP_1) | instskip(SKIP_1) | instid1(VALU_DEP_1)
	v_lshlrev_b64_e32 v[22:23], s0, v[22:23]
	s_add_nc_u64 s[0:1], s[0:1], 8
	v_or_b32_e32 v19, v23, v19
	s_delay_alu instid0(VALU_DEP_2)
	v_or_b32_e32 v18, v22, v18
	s_wait_alu 0xfffe
	s_and_not1_b32 exec_lo, exec_lo, s12
	s_cbranch_execnz .LBB0_30
; %bb.31:                               ;   in Loop: Header=BB0_3 Depth=1
	s_or_b32 exec_lo, exec_lo, s12
.LBB0_32:                               ;   in Loop: Header=BB0_3 Depth=1
	s_wait_alu 0xfffe
	s_or_b32 exec_lo, exec_lo, s11
	v_dual_mov_b32 v23, v21 :: v_dual_mov_b32 v22, v20
                                        ; implicit-def: $vgpr0
.LBB0_33:                               ;   in Loop: Header=BB0_3 Depth=1
	s_wait_alu 0xfffe
	s_or_saveexec_b32 s0, s10
	v_mov_b32_e32 v6, 0
	s_wait_alu 0xfffe
	s_xor_b32 exec_lo, exec_lo, s0
	s_cbranch_execz .LBB0_35
; %bb.34:                               ;   in Loop: Header=BB0_3 Depth=1
	global_load_b64 v[18:19], v[20:21], off
	v_add_nc_u32_e32 v6, -8, v0
.LBB0_35:                               ;   in Loop: Header=BB0_3 Depth=1
	s_or_b32 exec_lo, exec_lo, s0
	v_add_co_u32 v24, s0, v22, 8
	s_wait_alu 0xf1ff
	v_add_co_ci_u32_e64 v25, null, 0, v23, s0
	s_mov_b32 s0, exec_lo
	v_cmpx_gt_u32_e32 8, v6
	s_wait_alu 0xfffe
	s_xor_b32 s10, exec_lo, s0
	s_cbranch_execz .LBB0_41
; %bb.36:                               ;   in Loop: Header=BB0_3 Depth=1
	v_mov_b32_e32 v20, 0
	v_mov_b32_e32 v21, 0
	s_mov_b32 s11, exec_lo
	v_cmpx_ne_u32_e32 0, v6
	s_cbranch_execz .LBB0_40
; %bb.37:                               ;   in Loop: Header=BB0_3 Depth=1
	v_mov_b32_e32 v20, 0
	v_mov_b32_e32 v21, 0
	s_mov_b64 s[0:1], 0
	s_mov_b32 s12, 0
	s_mov_b64 s[4:5], 0
.LBB0_38:                               ;   Parent Loop BB0_3 Depth=1
                                        ; =>  This Inner Loop Header: Depth=2
	s_wait_alu 0xfffe
	v_add_co_u32 v24, vcc_lo, v22, s4
	s_wait_alu 0xfffd
	v_add_co_ci_u32_e64 v25, null, s5, v23, vcc_lo
	s_add_nc_u64 s[4:5], s[4:5], 1
	s_wait_alu 0xfffe
	v_cmp_eq_u32_e32 vcc_lo, s4, v6
	global_load_u8 v0, v[24:25], off
	v_mov_b32_e32 v25, s6
	s_or_b32 s12, vcc_lo, s12
	s_wait_loadcnt 0x0
	v_and_b32_e32 v24, 0xffff, v0
	s_delay_alu instid0(VALU_DEP_1) | instskip(SKIP_1) | instid1(VALU_DEP_1)
	v_lshlrev_b64_e32 v[24:25], s0, v[24:25]
	s_add_nc_u64 s[0:1], s[0:1], 8
	v_or_b32_e32 v21, v25, v21
	s_delay_alu instid0(VALU_DEP_2)
	v_or_b32_e32 v20, v24, v20
	s_wait_alu 0xfffe
	s_and_not1_b32 exec_lo, exec_lo, s12
	s_cbranch_execnz .LBB0_38
; %bb.39:                               ;   in Loop: Header=BB0_3 Depth=1
	s_or_b32 exec_lo, exec_lo, s12
.LBB0_40:                               ;   in Loop: Header=BB0_3 Depth=1
	s_wait_alu 0xfffe
	s_or_b32 exec_lo, exec_lo, s11
	v_dual_mov_b32 v25, v23 :: v_dual_mov_b32 v24, v22
                                        ; implicit-def: $vgpr6
.LBB0_41:                               ;   in Loop: Header=BB0_3 Depth=1
	s_wait_alu 0xfffe
	s_or_saveexec_b32 s0, s10
	v_mov_b32_e32 v0, 0
	s_wait_alu 0xfffe
	s_xor_b32 exec_lo, exec_lo, s0
	s_cbranch_execz .LBB0_43
; %bb.42:                               ;   in Loop: Header=BB0_3 Depth=1
	global_load_b64 v[20:21], v[22:23], off
	v_add_nc_u32_e32 v0, -8, v6
.LBB0_43:                               ;   in Loop: Header=BB0_3 Depth=1
	s_or_b32 exec_lo, exec_lo, s0
	v_add_co_u32 v26, s0, v24, 8
	s_wait_alu 0xf1ff
	v_add_co_ci_u32_e64 v27, null, 0, v25, s0
                                        ; implicit-def: $vgpr22_vgpr23
	s_mov_b32 s0, exec_lo
	v_cmpx_gt_u32_e32 8, v0
	s_wait_alu 0xfffe
	s_xor_b32 s10, exec_lo, s0
	s_cbranch_execz .LBB0_49
; %bb.44:                               ;   in Loop: Header=BB0_3 Depth=1
	v_mov_b32_e32 v22, 0
	v_mov_b32_e32 v23, 0
	s_mov_b32 s11, exec_lo
	v_cmpx_ne_u32_e32 0, v0
	s_cbranch_execz .LBB0_48
; %bb.45:                               ;   in Loop: Header=BB0_3 Depth=1
	v_mov_b32_e32 v22, 0
	v_mov_b32_e32 v23, 0
	s_mov_b64 s[0:1], 0
	s_mov_b32 s12, 0
	s_mov_b64 s[4:5], 0
.LBB0_46:                               ;   Parent Loop BB0_3 Depth=1
                                        ; =>  This Inner Loop Header: Depth=2
	s_wait_alu 0xfffe
	v_add_co_u32 v26, vcc_lo, v24, s4
	s_wait_alu 0xfffd
	v_add_co_ci_u32_e64 v27, null, s5, v25, vcc_lo
	s_add_nc_u64 s[4:5], s[4:5], 1
	s_wait_alu 0xfffe
	v_cmp_eq_u32_e32 vcc_lo, s4, v0
	global_load_u8 v6, v[26:27], off
	v_mov_b32_e32 v27, s6
	s_or_b32 s12, vcc_lo, s12
	s_wait_loadcnt 0x0
	v_and_b32_e32 v26, 0xffff, v6
	s_delay_alu instid0(VALU_DEP_1) | instskip(SKIP_1) | instid1(VALU_DEP_1)
	v_lshlrev_b64_e32 v[26:27], s0, v[26:27]
	s_add_nc_u64 s[0:1], s[0:1], 8
	v_or_b32_e32 v23, v27, v23
	s_delay_alu instid0(VALU_DEP_2)
	v_or_b32_e32 v22, v26, v22
	s_wait_alu 0xfffe
	s_and_not1_b32 exec_lo, exec_lo, s12
	s_cbranch_execnz .LBB0_46
; %bb.47:                               ;   in Loop: Header=BB0_3 Depth=1
	s_or_b32 exec_lo, exec_lo, s12
.LBB0_48:                               ;   in Loop: Header=BB0_3 Depth=1
	s_wait_alu 0xfffe
	s_or_b32 exec_lo, exec_lo, s11
	v_dual_mov_b32 v27, v25 :: v_dual_mov_b32 v26, v24
                                        ; implicit-def: $vgpr0
.LBB0_49:                               ;   in Loop: Header=BB0_3 Depth=1
	s_wait_alu 0xfffe
	s_or_saveexec_b32 s0, s10
	v_mov_b32_e32 v6, 0
	s_wait_alu 0xfffe
	s_xor_b32 exec_lo, exec_lo, s0
	s_cbranch_execz .LBB0_51
; %bb.50:                               ;   in Loop: Header=BB0_3 Depth=1
	global_load_b64 v[22:23], v[24:25], off
	v_add_nc_u32_e32 v6, -8, v0
.LBB0_51:                               ;   in Loop: Header=BB0_3 Depth=1
	s_or_b32 exec_lo, exec_lo, s0
	s_delay_alu instid0(SALU_CYCLE_1) | instskip(NEXT) | instid1(VALU_DEP_1)
	s_mov_b32 s0, exec_lo
	v_cmpx_gt_u32_e32 8, v6
	s_wait_alu 0xfffe
	s_xor_b32 s1, exec_lo, s0
	s_cbranch_execz .LBB0_57
; %bb.52:                               ;   in Loop: Header=BB0_3 Depth=1
	v_mov_b32_e32 v24, 0
	v_mov_b32_e32 v25, 0
	s_mov_b32 s10, exec_lo
	v_cmpx_ne_u32_e32 0, v6
	s_cbranch_execz .LBB0_56
; %bb.53:                               ;   in Loop: Header=BB0_3 Depth=1
	v_mov_b32_e32 v24, 0
	v_mov_b32_e32 v25, 0
	s_mov_b64 s[4:5], 0
	s_mov_b32 s11, 0
.LBB0_54:                               ;   Parent Loop BB0_3 Depth=1
                                        ; =>  This Inner Loop Header: Depth=2
	global_load_u8 v0, v[26:27], off
	v_dual_mov_b32 v29, s6 :: v_dual_add_nc_u32 v6, -1, v6
	v_add_co_u32 v26, vcc_lo, v26, 1
	s_wait_alu 0xfffd
	v_add_co_ci_u32_e64 v27, null, 0, v27, vcc_lo
	s_delay_alu instid0(VALU_DEP_3) | instskip(SKIP_4) | instid1(VALU_DEP_1)
	v_cmp_eq_u32_e64 s0, 0, v6
	s_wait_alu 0xfffe
	s_or_b32 s11, s0, s11
	s_wait_loadcnt 0x0
	v_and_b32_e32 v28, 0xffff, v0
	v_lshlrev_b64_e32 v[28:29], s4, v[28:29]
	s_add_nc_u64 s[4:5], s[4:5], 8
	s_delay_alu instid0(VALU_DEP_1) | instskip(NEXT) | instid1(VALU_DEP_2)
	v_or_b32_e32 v25, v29, v25
	v_or_b32_e32 v24, v28, v24
	s_wait_alu 0xfffe
	s_and_not1_b32 exec_lo, exec_lo, s11
	s_cbranch_execnz .LBB0_54
; %bb.55:                               ;   in Loop: Header=BB0_3 Depth=1
	s_or_b32 exec_lo, exec_lo, s11
.LBB0_56:                               ;   in Loop: Header=BB0_3 Depth=1
	s_wait_alu 0xfffe
	s_or_b32 exec_lo, exec_lo, s10
                                        ; implicit-def: $vgpr26_vgpr27
.LBB0_57:                               ;   in Loop: Header=BB0_3 Depth=1
	s_wait_alu 0xfffe
	s_and_not1_saveexec_b32 s0, s1
	s_cbranch_execz .LBB0_59
; %bb.58:                               ;   in Loop: Header=BB0_3 Depth=1
	global_load_b64 v[24:25], v[26:27], off
.LBB0_59:                               ;   in Loop: Header=BB0_3 Depth=1
	s_wait_alu 0xfffe
	s_or_b32 exec_lo, exec_lo, s0
	v_readfirstlane_b32 s0, v37
	v_mov_b32_e32 v32, 0
	v_mov_b32_e32 v33, 0
	s_wait_alu 0xf1ff
	s_delay_alu instid0(VALU_DEP_3)
	v_cmp_eq_u32_e64 s0, s0, v37
	s_and_saveexec_b32 s1, s0
	s_cbranch_execz .LBB0_65
; %bb.60:                               ;   in Loop: Header=BB0_3 Depth=1
	s_wait_kmcnt 0x0
	global_load_b64 v[28:29], v7, s[2:3] offset:24 scope:SCOPE_SYS
	s_wait_loadcnt 0x0
	global_inv scope:SCOPE_SYS
	s_clause 0x1
	global_load_b64 v[26:27], v7, s[2:3] offset:40
	global_load_b64 v[32:33], v7, s[2:3]
	s_mov_b32 s4, exec_lo
	s_wait_loadcnt 0x1
	v_and_b32_e32 v0, v27, v29
	v_and_b32_e32 v6, v26, v28
	s_delay_alu instid0(VALU_DEP_2) | instskip(NEXT) | instid1(VALU_DEP_2)
	v_mul_lo_u32 v0, 24, v0
	v_mul_lo_u32 v26, 0, v6
	v_mul_hi_u32 v27, 24, v6
	v_mul_lo_u32 v6, 24, v6
	s_delay_alu instid0(VALU_DEP_3) | instskip(SKIP_1) | instid1(VALU_DEP_2)
	v_add_nc_u32_e32 v0, v0, v26
	s_wait_loadcnt 0x0
	v_add_co_u32 v26, vcc_lo, v32, v6
	s_delay_alu instid0(VALU_DEP_2) | instskip(SKIP_1) | instid1(VALU_DEP_1)
	v_add_nc_u32_e32 v0, v0, v27
	s_wait_alu 0xfffd
	v_add_co_ci_u32_e64 v27, null, v33, v0, vcc_lo
	global_load_b64 v[26:27], v[26:27], off scope:SCOPE_SYS
	s_wait_loadcnt 0x0
	global_atomic_cmpswap_b64 v[32:33], v7, v[26:29], s[2:3] offset:24 th:TH_ATOMIC_RETURN scope:SCOPE_SYS
	s_wait_loadcnt 0x0
	global_inv scope:SCOPE_SYS
	v_cmpx_ne_u64_e64 v[32:33], v[28:29]
	s_cbranch_execz .LBB0_64
; %bb.61:                               ;   in Loop: Header=BB0_3 Depth=1
	s_mov_b32 s5, 0
.LBB0_62:                               ;   Parent Loop BB0_3 Depth=1
                                        ; =>  This Inner Loop Header: Depth=2
	s_sleep 1
	s_clause 0x1
	global_load_b64 v[26:27], v7, s[2:3] offset:40
	global_load_b64 v[34:35], v7, s[2:3]
	v_dual_mov_b32 v28, v32 :: v_dual_mov_b32 v29, v33
	s_wait_loadcnt 0x1
	s_delay_alu instid0(VALU_DEP_1) | instskip(NEXT) | instid1(VALU_DEP_2)
	v_and_b32_e32 v0, v26, v28
	v_and_b32_e32 v6, v27, v29
	s_wait_loadcnt 0x0
	s_delay_alu instid0(VALU_DEP_2) | instskip(NEXT) | instid1(VALU_DEP_1)
	v_mad_co_u64_u32 v[32:33], null, v0, 24, v[34:35]
	v_mov_b32_e32 v0, v33
	s_delay_alu instid0(VALU_DEP_1) | instskip(NEXT) | instid1(VALU_DEP_1)
	v_mad_co_u64_u32 v[26:27], null, v6, 24, v[0:1]
	v_mov_b32_e32 v33, v26
	global_load_b64 v[26:27], v[32:33], off scope:SCOPE_SYS
	s_wait_loadcnt 0x0
	global_atomic_cmpswap_b64 v[32:33], v7, v[26:29], s[2:3] offset:24 th:TH_ATOMIC_RETURN scope:SCOPE_SYS
	s_wait_loadcnt 0x0
	global_inv scope:SCOPE_SYS
	v_cmp_eq_u64_e32 vcc_lo, v[32:33], v[28:29]
	s_wait_alu 0xfffe
	s_or_b32 s5, vcc_lo, s5
	s_wait_alu 0xfffe
	s_and_not1_b32 exec_lo, exec_lo, s5
	s_cbranch_execnz .LBB0_62
; %bb.63:                               ;   in Loop: Header=BB0_3 Depth=1
	s_or_b32 exec_lo, exec_lo, s5
.LBB0_64:                               ;   in Loop: Header=BB0_3 Depth=1
	s_wait_alu 0xfffe
	s_or_b32 exec_lo, exec_lo, s4
.LBB0_65:                               ;   in Loop: Header=BB0_3 Depth=1
	s_wait_alu 0xfffe
	s_or_b32 exec_lo, exec_lo, s1
	s_wait_kmcnt 0x0
	s_clause 0x1
	global_load_b64 v[34:35], v7, s[2:3] offset:40
	global_load_b128 v[26:29], v7, s[2:3]
	v_readfirstlane_b32 s5, v33
	v_readfirstlane_b32 s4, v32
	s_mov_b32 s1, exec_lo
	s_wait_loadcnt 0x1
	s_wait_alu 0xf1ff
	v_and_b32_e32 v35, s5, v35
	v_and_b32_e32 v34, s4, v34
	s_delay_alu instid0(VALU_DEP_2) | instskip(NEXT) | instid1(VALU_DEP_2)
	v_mul_lo_u32 v0, 24, v35
	v_mul_lo_u32 v6, 0, v34
	v_mul_hi_u32 v32, 24, v34
	v_mul_lo_u32 v33, 24, v34
	s_delay_alu instid0(VALU_DEP_3) | instskip(NEXT) | instid1(VALU_DEP_1)
	v_add_nc_u32_e32 v0, v0, v6
	v_add_nc_u32_e32 v0, v0, v32
	s_wait_loadcnt 0x0
	s_delay_alu instid0(VALU_DEP_3) | instskip(SKIP_1) | instid1(VALU_DEP_2)
	v_add_co_u32 v32, vcc_lo, v26, v33
	s_wait_alu 0xfffd
	v_add_co_ci_u32_e64 v33, null, v27, v0, vcc_lo
	s_and_saveexec_b32 s10, s0
	s_cbranch_execz .LBB0_67
; %bb.66:                               ;   in Loop: Header=BB0_3 Depth=1
	s_wait_alu 0xfffe
	v_mov_b32_e32 v6, s1
	global_store_b128 v[32:33], v[6:9], off offset:8
.LBB0_67:                               ;   in Loop: Header=BB0_3 Depth=1
	s_wait_alu 0xfffe
	s_or_b32 exec_lo, exec_lo, s10
	v_cmp_gt_u64_e32 vcc_lo, 57, v[4:5]
	v_lshlrev_b64_e32 v[34:35], 12, v[34:35]
	v_and_b32_e32 v6, 0xffffff1f, v10
	v_lshl_add_u32 v10, v30, 2, 28
	s_wait_alu 0xfffd
	v_cndmask_b32_e32 v0, 0, v38, vcc_lo
	s_delay_alu instid0(VALU_DEP_1) | instskip(SKIP_3) | instid1(VALU_DEP_3)
	v_or_b32_e32 v6, v6, v0
	v_add_co_u32 v0, vcc_lo, v28, v34
	s_wait_alu 0xfffd
	v_add_co_ci_u32_e64 v28, null, v29, v35, vcc_lo
	v_and_or_b32 v10, 0x1e0, v10, v6
	v_lshlrev_b32_e32 v29, 6, v37
	v_readfirstlane_b32 s10, v0
	s_delay_alu instid0(VALU_DEP_4)
	v_readfirstlane_b32 s11, v28
	s_clause 0x3
	global_store_b128 v29, v[10:13], s[10:11]
	global_store_b128 v29, v[14:17], s[10:11] offset:16
	global_store_b128 v29, v[18:21], s[10:11] offset:32
	;; [unrolled: 1-line block ×3, first 2 shown]
	s_and_saveexec_b32 s1, s0
	s_cbranch_execz .LBB0_75
; %bb.68:                               ;   in Loop: Header=BB0_3 Depth=1
	s_clause 0x1
	global_load_b64 v[18:19], v7, s[2:3] offset:32 scope:SCOPE_SYS
	global_load_b64 v[10:11], v7, s[2:3] offset:40
	v_mov_b32_e32 v16, s4
	s_mov_b32 s10, exec_lo
	s_wait_loadcnt 0x0
	v_dual_mov_b32 v17, s5 :: v_dual_and_b32 v6, s5, v11
	v_and_b32_e32 v10, s4, v10
	s_delay_alu instid0(VALU_DEP_2) | instskip(NEXT) | instid1(VALU_DEP_2)
	v_mul_lo_u32 v6, 24, v6
	v_mul_lo_u32 v11, 0, v10
	v_mul_hi_u32 v12, 24, v10
	v_mul_lo_u32 v10, 24, v10
	s_delay_alu instid0(VALU_DEP_3) | instskip(NEXT) | instid1(VALU_DEP_2)
	v_add_nc_u32_e32 v6, v6, v11
	v_add_co_u32 v14, vcc_lo, v26, v10
	s_delay_alu instid0(VALU_DEP_2) | instskip(SKIP_1) | instid1(VALU_DEP_1)
	v_add_nc_u32_e32 v6, v6, v12
	s_wait_alu 0xfffd
	v_add_co_ci_u32_e64 v15, null, v27, v6, vcc_lo
	global_store_b64 v[14:15], v[18:19], off
	global_wb scope:SCOPE_SYS
	s_wait_storecnt 0x0
	global_atomic_cmpswap_b64 v[12:13], v7, v[16:19], s[2:3] offset:32 th:TH_ATOMIC_RETURN scope:SCOPE_SYS
	s_wait_loadcnt 0x0
	v_cmpx_ne_u64_e64 v[12:13], v[18:19]
	s_cbranch_execz .LBB0_71
; %bb.69:                               ;   in Loop: Header=BB0_3 Depth=1
	s_mov_b32 s11, 0
.LBB0_70:                               ;   Parent Loop BB0_3 Depth=1
                                        ; =>  This Inner Loop Header: Depth=2
	v_dual_mov_b32 v10, s4 :: v_dual_mov_b32 v11, s5
	s_sleep 1
	global_store_b64 v[14:15], v[12:13], off
	global_wb scope:SCOPE_SYS
	s_wait_storecnt 0x0
	global_atomic_cmpswap_b64 v[10:11], v7, v[10:13], s[2:3] offset:32 th:TH_ATOMIC_RETURN scope:SCOPE_SYS
	s_wait_loadcnt 0x0
	v_cmp_eq_u64_e32 vcc_lo, v[10:11], v[12:13]
	v_dual_mov_b32 v13, v11 :: v_dual_mov_b32 v12, v10
	s_wait_alu 0xfffe
	s_or_b32 s11, vcc_lo, s11
	s_wait_alu 0xfffe
	s_and_not1_b32 exec_lo, exec_lo, s11
	s_cbranch_execnz .LBB0_70
.LBB0_71:                               ;   in Loop: Header=BB0_3 Depth=1
	s_wait_alu 0xfffe
	s_or_b32 exec_lo, exec_lo, s10
	global_load_b64 v[10:11], v7, s[2:3] offset:16
	s_mov_b32 s11, exec_lo
	s_mov_b32 s10, exec_lo
	s_wait_alu 0xfffe
	v_mbcnt_lo_u32_b32 v6, s11, 0
	s_delay_alu instid0(VALU_DEP_1)
	v_cmpx_eq_u32_e32 0, v6
	s_cbranch_execz .LBB0_73
; %bb.72:                               ;   in Loop: Header=BB0_3 Depth=1
	s_bcnt1_i32_b32 s11, s11
	s_wait_alu 0xfffe
	v_mov_b32_e32 v6, s11
	global_wb scope:SCOPE_SYS
	s_wait_loadcnt 0x0
	s_wait_storecnt 0x0
	global_atomic_add_u64 v[10:11], v[6:7], off offset:8 scope:SCOPE_SYS
.LBB0_73:                               ;   in Loop: Header=BB0_3 Depth=1
	s_or_b32 exec_lo, exec_lo, s10
	s_wait_loadcnt 0x0
	global_load_b64 v[12:13], v[10:11], off offset:16
	s_wait_loadcnt 0x0
	v_cmp_eq_u64_e32 vcc_lo, 0, v[12:13]
	s_cbranch_vccnz .LBB0_75
; %bb.74:                               ;   in Loop: Header=BB0_3 Depth=1
	global_load_b32 v6, v[10:11], off offset:24
	s_wait_loadcnt 0x0
	v_readfirstlane_b32 s10, v6
	global_wb scope:SCOPE_SYS
	s_wait_storecnt 0x0
	global_store_b64 v[12:13], v[6:7], off scope:SCOPE_SYS
	s_and_b32 m0, s10, 0xffffff
	s_sendmsg sendmsg(MSG_INTERRUPT)
.LBB0_75:                               ;   in Loop: Header=BB0_3 Depth=1
	s_wait_alu 0xfffe
	s_or_b32 exec_lo, exec_lo, s1
	v_add_co_u32 v10, vcc_lo, v0, v29
	s_wait_alu 0xfffd
	v_add_co_ci_u32_e64 v11, null, 0, v28, vcc_lo
	s_branch .LBB0_79
.LBB0_76:                               ;   in Loop: Header=BB0_79 Depth=2
	s_wait_alu 0xfffe
	s_or_b32 exec_lo, exec_lo, s1
	s_delay_alu instid0(VALU_DEP_1)
	v_readfirstlane_b32 s1, v0
	s_cmp_eq_u32 s1, 0
	s_cbranch_scc1 .LBB0_78
; %bb.77:                               ;   in Loop: Header=BB0_79 Depth=2
	s_sleep 1
	s_cbranch_execnz .LBB0_79
	s_branch .LBB0_81
.LBB0_78:                               ;   in Loop: Header=BB0_3 Depth=1
	s_branch .LBB0_81
.LBB0_79:                               ;   Parent Loop BB0_3 Depth=1
                                        ; =>  This Inner Loop Header: Depth=2
	v_mov_b32_e32 v0, 1
	s_and_saveexec_b32 s1, s0
	s_cbranch_execz .LBB0_76
; %bb.80:                               ;   in Loop: Header=BB0_79 Depth=2
	global_load_b32 v0, v[32:33], off offset:20 scope:SCOPE_SYS
	s_wait_loadcnt 0x0
	global_inv scope:SCOPE_SYS
	v_and_b32_e32 v0, 1, v0
	s_branch .LBB0_76
.LBB0_81:                               ;   in Loop: Header=BB0_3 Depth=1
	global_load_b128 v[10:13], v[10:11], off
	s_and_saveexec_b32 s10, s0
	s_cbranch_execz .LBB0_2
; %bb.82:                               ;   in Loop: Header=BB0_3 Depth=1
	s_wait_loadcnt 0x0
	s_clause 0x2
	global_load_b64 v[12:13], v7, s[2:3] offset:40
	global_load_b64 v[20:21], v7, s[2:3] offset:24 scope:SCOPE_SYS
	global_load_b64 v[14:15], v7, s[2:3]
	s_wait_loadcnt 0x2
	v_readfirstlane_b32 s12, v12
	v_readfirstlane_b32 s13, v13
	s_add_nc_u64 s[0:1], s[12:13], 1
	s_wait_alu 0xfffe
	s_add_nc_u64 s[4:5], s[0:1], s[4:5]
	s_wait_alu 0xfffe
	s_cmp_eq_u64 s[4:5], 0
	s_cselect_b32 s1, s1, s5
	s_cselect_b32 s0, s0, s4
	s_wait_alu 0xfffe
	v_dual_mov_b32 v19, s1 :: v_dual_mov_b32 v18, s0
	s_and_b64 s[4:5], s[0:1], s[12:13]
	s_wait_alu 0xfffe
	s_mul_u64 s[4:5], s[4:5], 24
	s_wait_loadcnt 0x0
	s_wait_alu 0xfffe
	v_add_co_u32 v16, vcc_lo, v14, s4
	s_wait_alu 0xfffd
	v_add_co_ci_u32_e64 v17, null, s5, v15, vcc_lo
	global_store_b64 v[16:17], v[20:21], off
	global_wb scope:SCOPE_SYS
	s_wait_storecnt 0x0
	global_atomic_cmpswap_b64 v[14:15], v7, v[18:21], s[2:3] offset:24 th:TH_ATOMIC_RETURN scope:SCOPE_SYS
	s_wait_loadcnt 0x0
	v_cmp_ne_u64_e32 vcc_lo, v[14:15], v[20:21]
	s_and_b32 exec_lo, exec_lo, vcc_lo
	s_cbranch_execz .LBB0_2
; %bb.83:                               ;   in Loop: Header=BB0_3 Depth=1
	s_mov_b32 s4, 0
.LBB0_84:                               ;   Parent Loop BB0_3 Depth=1
                                        ; =>  This Inner Loop Header: Depth=2
	v_dual_mov_b32 v12, s0 :: v_dual_mov_b32 v13, s1
	s_sleep 1
	global_store_b64 v[16:17], v[14:15], off
	global_wb scope:SCOPE_SYS
	s_wait_storecnt 0x0
	global_atomic_cmpswap_b64 v[12:13], v7, v[12:15], s[2:3] offset:24 th:TH_ATOMIC_RETURN scope:SCOPE_SYS
	s_wait_loadcnt 0x0
	v_cmp_eq_u64_e32 vcc_lo, v[12:13], v[14:15]
	v_dual_mov_b32 v15, v13 :: v_dual_mov_b32 v14, v12
	s_wait_alu 0xfffe
	s_or_b32 s4, vcc_lo, s4
	s_wait_alu 0xfffe
	s_and_not1_b32 exec_lo, exec_lo, s4
	s_cbranch_execnz .LBB0_84
	s_branch .LBB0_2
.LBB0_85:
	s_or_b32 exec_lo, exec_lo, s7
	s_branch .LBB0_114
.LBB0_86:
	s_load_b64 s[2:3], s[8:9], 0x50
	v_readfirstlane_b32 s0, v37
	v_mov_b32_e32 v8, 0
	v_mov_b32_e32 v9, 0
	s_wait_alu 0xf1ff
	s_delay_alu instid0(VALU_DEP_3)
	v_cmp_eq_u32_e64 s0, s0, v37
	s_and_saveexec_b32 s1, s0
	s_cbranch_execz .LBB0_92
; %bb.87:
	v_mov_b32_e32 v0, 0
	s_mov_b32 s4, exec_lo
	s_wait_kmcnt 0x0
	global_load_b64 v[4:5], v0, s[2:3] offset:24 scope:SCOPE_SYS
	s_wait_loadcnt 0x0
	global_inv scope:SCOPE_SYS
	s_clause 0x1
	global_load_b64 v[2:3], v0, s[2:3] offset:40
	global_load_b64 v[6:7], v0, s[2:3]
	s_wait_loadcnt 0x1
	v_and_b32_e32 v3, v3, v5
	v_and_b32_e32 v2, v2, v4
	s_delay_alu instid0(VALU_DEP_2) | instskip(NEXT) | instid1(VALU_DEP_2)
	v_mul_lo_u32 v3, 24, v3
	v_mul_lo_u32 v8, 0, v2
	v_mul_hi_u32 v9, 24, v2
	v_mul_lo_u32 v2, 24, v2
	s_delay_alu instid0(VALU_DEP_3) | instskip(SKIP_1) | instid1(VALU_DEP_2)
	v_add_nc_u32_e32 v3, v3, v8
	s_wait_loadcnt 0x0
	v_add_co_u32 v2, vcc_lo, v6, v2
	s_delay_alu instid0(VALU_DEP_2) | instskip(SKIP_1) | instid1(VALU_DEP_1)
	v_add_nc_u32_e32 v3, v3, v9
	s_wait_alu 0xfffd
	v_add_co_ci_u32_e64 v3, null, v7, v3, vcc_lo
	global_load_b64 v[2:3], v[2:3], off scope:SCOPE_SYS
	s_wait_loadcnt 0x0
	global_atomic_cmpswap_b64 v[8:9], v0, v[2:5], s[2:3] offset:24 th:TH_ATOMIC_RETURN scope:SCOPE_SYS
	s_wait_loadcnt 0x0
	global_inv scope:SCOPE_SYS
	v_cmpx_ne_u64_e64 v[8:9], v[4:5]
	s_cbranch_execz .LBB0_91
; %bb.88:
	s_mov_b32 s5, 0
.LBB0_89:                               ; =>This Inner Loop Header: Depth=1
	s_sleep 1
	s_clause 0x1
	global_load_b64 v[2:3], v0, s[2:3] offset:40
	global_load_b64 v[6:7], v0, s[2:3]
	v_dual_mov_b32 v4, v8 :: v_dual_mov_b32 v5, v9
	s_wait_loadcnt 0x1
	s_delay_alu instid0(VALU_DEP_1) | instskip(NEXT) | instid1(VALU_DEP_2)
	v_and_b32_e32 v2, v2, v4
	v_and_b32_e32 v3, v3, v5
	s_wait_loadcnt 0x0
	s_delay_alu instid0(VALU_DEP_2) | instskip(NEXT) | instid1(VALU_DEP_1)
	v_mad_co_u64_u32 v[6:7], null, v2, 24, v[6:7]
	v_mov_b32_e32 v2, v7
	s_delay_alu instid0(VALU_DEP_1) | instskip(NEXT) | instid1(VALU_DEP_1)
	v_mad_co_u64_u32 v[2:3], null, v3, 24, v[2:3]
	v_mov_b32_e32 v7, v2
	global_load_b64 v[2:3], v[6:7], off scope:SCOPE_SYS
	s_wait_loadcnt 0x0
	global_atomic_cmpswap_b64 v[8:9], v0, v[2:5], s[2:3] offset:24 th:TH_ATOMIC_RETURN scope:SCOPE_SYS
	s_wait_loadcnt 0x0
	global_inv scope:SCOPE_SYS
	v_cmp_eq_u64_e32 vcc_lo, v[8:9], v[4:5]
	s_wait_alu 0xfffe
	s_or_b32 s5, vcc_lo, s5
	s_wait_alu 0xfffe
	s_and_not1_b32 exec_lo, exec_lo, s5
	s_cbranch_execnz .LBB0_89
; %bb.90:
	s_or_b32 exec_lo, exec_lo, s5
.LBB0_91:
	s_wait_alu 0xfffe
	s_or_b32 exec_lo, exec_lo, s4
.LBB0_92:
	s_wait_alu 0xfffe
	s_or_b32 exec_lo, exec_lo, s1
	v_readfirstlane_b32 s5, v9
	v_mov_b32_e32 v2, 0
	v_readfirstlane_b32 s4, v8
	s_mov_b32 s1, exec_lo
	s_wait_loadcnt 0x0
	s_wait_kmcnt 0x0
	s_clause 0x1
	global_load_b64 v[10:11], v2, s[2:3] offset:40
	global_load_b128 v[4:7], v2, s[2:3]
	s_wait_loadcnt 0x1
	s_wait_alu 0xf1ff
	v_and_b32_e32 v11, s5, v11
	v_and_b32_e32 v10, s4, v10
	s_delay_alu instid0(VALU_DEP_2) | instskip(NEXT) | instid1(VALU_DEP_2)
	v_mul_lo_u32 v0, 24, v11
	v_mul_lo_u32 v3, 0, v10
	v_mul_hi_u32 v8, 24, v10
	v_mul_lo_u32 v9, 24, v10
	s_delay_alu instid0(VALU_DEP_3) | instskip(NEXT) | instid1(VALU_DEP_1)
	v_add_nc_u32_e32 v0, v0, v3
	v_add_nc_u32_e32 v0, v0, v8
	s_wait_loadcnt 0x0
	s_delay_alu instid0(VALU_DEP_3) | instskip(SKIP_1) | instid1(VALU_DEP_2)
	v_add_co_u32 v8, vcc_lo, v4, v9
	s_wait_alu 0xfffd
	v_add_co_ci_u32_e64 v9, null, v5, v0, vcc_lo
	s_and_saveexec_b32 s6, s0
	s_cbranch_execz .LBB0_94
; %bb.93:
	s_wait_alu 0xfffe
	v_dual_mov_b32 v12, s1 :: v_dual_mov_b32 v13, v2
	v_dual_mov_b32 v14, 2 :: v_dual_mov_b32 v15, 1
	global_store_b128 v[8:9], v[12:15], off offset:8
.LBB0_94:
	s_wait_alu 0xfffe
	s_or_b32 exec_lo, exec_lo, s6
	v_lshlrev_b64_e32 v[10:11], 12, v[10:11]
	s_mov_b32 s8, 0
	v_and_or_b32 v0, 0xffffff1f, v36, 32
	s_wait_alu 0xfffe
	s_mov_b32 s11, s8
	s_mov_b32 s9, s8
	;; [unrolled: 1-line block ×3, first 2 shown]
	v_add_co_u32 v6, vcc_lo, v6, v10
	s_wait_alu 0xfffd
	v_add_co_ci_u32_e64 v7, null, v7, v11, vcc_lo
	v_dual_mov_b32 v3, v2 :: v_dual_lshlrev_b32 v14, 6, v37
	s_delay_alu instid0(VALU_DEP_3) | instskip(NEXT) | instid1(VALU_DEP_3)
	v_readfirstlane_b32 s6, v6
	v_readfirstlane_b32 s7, v7
	s_wait_alu 0xfffe
	v_dual_mov_b32 v13, s11 :: v_dual_mov_b32 v12, s10
	v_dual_mov_b32 v11, s9 :: v_dual_mov_b32 v10, s8
	s_clause 0x3
	global_store_b128 v14, v[0:3], s[6:7]
	global_store_b128 v14, v[10:13], s[6:7] offset:16
	global_store_b128 v14, v[10:13], s[6:7] offset:32
	;; [unrolled: 1-line block ×3, first 2 shown]
	s_and_saveexec_b32 s1, s0
	s_cbranch_execz .LBB0_102
; %bb.95:
	v_mov_b32_e32 v6, 0
	s_mov_b32 s6, exec_lo
	s_clause 0x1
	global_load_b64 v[12:13], v6, s[2:3] offset:32 scope:SCOPE_SYS
	global_load_b64 v[0:1], v6, s[2:3] offset:40
	v_dual_mov_b32 v11, s5 :: v_dual_mov_b32 v10, s4
	s_wait_loadcnt 0x0
	v_and_b32_e32 v1, s5, v1
	v_and_b32_e32 v0, s4, v0
	s_delay_alu instid0(VALU_DEP_2) | instskip(NEXT) | instid1(VALU_DEP_2)
	v_mul_lo_u32 v1, 24, v1
	v_mul_lo_u32 v2, 0, v0
	v_mul_hi_u32 v3, 24, v0
	v_mul_lo_u32 v0, 24, v0
	s_delay_alu instid0(VALU_DEP_3) | instskip(NEXT) | instid1(VALU_DEP_2)
	v_add_nc_u32_e32 v1, v1, v2
	v_add_co_u32 v4, vcc_lo, v4, v0
	s_delay_alu instid0(VALU_DEP_2) | instskip(SKIP_1) | instid1(VALU_DEP_1)
	v_add_nc_u32_e32 v1, v1, v3
	s_wait_alu 0xfffd
	v_add_co_ci_u32_e64 v5, null, v5, v1, vcc_lo
	global_store_b64 v[4:5], v[12:13], off
	global_wb scope:SCOPE_SYS
	s_wait_storecnt 0x0
	global_atomic_cmpswap_b64 v[2:3], v6, v[10:13], s[2:3] offset:32 th:TH_ATOMIC_RETURN scope:SCOPE_SYS
	s_wait_loadcnt 0x0
	v_cmpx_ne_u64_e64 v[2:3], v[12:13]
	s_cbranch_execz .LBB0_98
; %bb.96:
	s_mov_b32 s7, 0
.LBB0_97:                               ; =>This Inner Loop Header: Depth=1
	v_dual_mov_b32 v0, s4 :: v_dual_mov_b32 v1, s5
	s_sleep 1
	global_store_b64 v[4:5], v[2:3], off
	global_wb scope:SCOPE_SYS
	s_wait_storecnt 0x0
	global_atomic_cmpswap_b64 v[0:1], v6, v[0:3], s[2:3] offset:32 th:TH_ATOMIC_RETURN scope:SCOPE_SYS
	s_wait_loadcnt 0x0
	v_cmp_eq_u64_e32 vcc_lo, v[0:1], v[2:3]
	v_dual_mov_b32 v3, v1 :: v_dual_mov_b32 v2, v0
	s_wait_alu 0xfffe
	s_or_b32 s7, vcc_lo, s7
	s_wait_alu 0xfffe
	s_and_not1_b32 exec_lo, exec_lo, s7
	s_cbranch_execnz .LBB0_97
.LBB0_98:
	s_wait_alu 0xfffe
	s_or_b32 exec_lo, exec_lo, s6
	v_mov_b32_e32 v3, 0
	s_mov_b32 s7, exec_lo
	s_mov_b32 s6, exec_lo
	s_wait_alu 0xfffe
	v_mbcnt_lo_u32_b32 v2, s7, 0
	global_load_b64 v[0:1], v3, s[2:3] offset:16
	v_cmpx_eq_u32_e32 0, v2
	s_cbranch_execz .LBB0_100
; %bb.99:
	s_bcnt1_i32_b32 s7, s7
	s_wait_alu 0xfffe
	v_mov_b32_e32 v2, s7
	global_wb scope:SCOPE_SYS
	s_wait_loadcnt 0x0
	s_wait_storecnt 0x0
	global_atomic_add_u64 v[0:1], v[2:3], off offset:8 scope:SCOPE_SYS
.LBB0_100:
	s_or_b32 exec_lo, exec_lo, s6
	s_wait_loadcnt 0x0
	global_load_b64 v[2:3], v[0:1], off offset:16
	s_wait_loadcnt 0x0
	v_cmp_eq_u64_e32 vcc_lo, 0, v[2:3]
	s_cbranch_vccnz .LBB0_102
; %bb.101:
	global_load_b32 v0, v[0:1], off offset:24
	v_mov_b32_e32 v1, 0
	s_wait_loadcnt 0x0
	v_readfirstlane_b32 s6, v0
	global_wb scope:SCOPE_SYS
	s_wait_storecnt 0x0
	global_store_b64 v[2:3], v[0:1], off scope:SCOPE_SYS
	s_and_b32 m0, s6, 0xffffff
	s_sendmsg sendmsg(MSG_INTERRUPT)
.LBB0_102:
	s_wait_alu 0xfffe
	s_or_b32 exec_lo, exec_lo, s1
	s_branch .LBB0_106
.LBB0_103:                              ;   in Loop: Header=BB0_106 Depth=1
	s_wait_alu 0xfffe
	s_or_b32 exec_lo, exec_lo, s1
	s_delay_alu instid0(VALU_DEP_1)
	v_readfirstlane_b32 s1, v0
	s_cmp_eq_u32 s1, 0
	s_cbranch_scc1 .LBB0_105
; %bb.104:                              ;   in Loop: Header=BB0_106 Depth=1
	s_sleep 1
	s_cbranch_execnz .LBB0_106
	s_branch .LBB0_108
.LBB0_105:
	s_branch .LBB0_108
.LBB0_106:                              ; =>This Inner Loop Header: Depth=1
	v_mov_b32_e32 v0, 1
	s_and_saveexec_b32 s1, s0
	s_cbranch_execz .LBB0_103
; %bb.107:                              ;   in Loop: Header=BB0_106 Depth=1
	global_load_b32 v0, v[8:9], off offset:20 scope:SCOPE_SYS
	s_wait_loadcnt 0x0
	global_inv scope:SCOPE_SYS
	v_and_b32_e32 v0, 1, v0
	s_branch .LBB0_103
.LBB0_108:
	s_and_saveexec_b32 s6, s0
	s_cbranch_execz .LBB0_112
; %bb.109:
	v_mov_b32_e32 v6, 0
	s_clause 0x2
	global_load_b64 v[0:1], v6, s[2:3] offset:40
	global_load_b64 v[9:10], v6, s[2:3] offset:24 scope:SCOPE_SYS
	global_load_b64 v[2:3], v6, s[2:3]
	s_wait_loadcnt 0x2
	v_readfirstlane_b32 s8, v0
	v_readfirstlane_b32 s9, v1
	s_add_nc_u64 s[0:1], s[8:9], 1
	s_wait_alu 0xfffe
	s_add_nc_u64 s[4:5], s[0:1], s[4:5]
	s_wait_alu 0xfffe
	s_cmp_eq_u64 s[4:5], 0
	s_cselect_b32 s1, s1, s5
	s_cselect_b32 s0, s0, s4
	s_wait_alu 0xfffe
	v_mov_b32_e32 v8, s1
	s_and_b64 s[4:5], s[0:1], s[8:9]
	v_mov_b32_e32 v7, s0
	s_wait_alu 0xfffe
	s_mul_u64 s[4:5], s[4:5], 24
	s_wait_loadcnt 0x0
	s_wait_alu 0xfffe
	v_add_co_u32 v4, vcc_lo, v2, s4
	s_wait_alu 0xfffd
	v_add_co_ci_u32_e64 v5, null, s5, v3, vcc_lo
	global_store_b64 v[4:5], v[9:10], off
	global_wb scope:SCOPE_SYS
	s_wait_storecnt 0x0
	global_atomic_cmpswap_b64 v[2:3], v6, v[7:10], s[2:3] offset:24 th:TH_ATOMIC_RETURN scope:SCOPE_SYS
	s_wait_loadcnt 0x0
	v_cmp_ne_u64_e32 vcc_lo, v[2:3], v[9:10]
	s_and_b32 exec_lo, exec_lo, vcc_lo
	s_cbranch_execz .LBB0_112
; %bb.110:
	s_mov_b32 s4, 0
.LBB0_111:                              ; =>This Inner Loop Header: Depth=1
	v_dual_mov_b32 v0, s0 :: v_dual_mov_b32 v1, s1
	s_sleep 1
	global_store_b64 v[4:5], v[2:3], off
	global_wb scope:SCOPE_SYS
	s_wait_storecnt 0x0
	global_atomic_cmpswap_b64 v[0:1], v6, v[0:3], s[2:3] offset:24 th:TH_ATOMIC_RETURN scope:SCOPE_SYS
	s_wait_loadcnt 0x0
	v_cmp_eq_u64_e32 vcc_lo, v[0:1], v[2:3]
	v_dual_mov_b32 v3, v1 :: v_dual_mov_b32 v2, v0
	s_wait_alu 0xfffe
	s_or_b32 s4, vcc_lo, s4
	s_wait_alu 0xfffe
	s_and_not1_b32 exec_lo, exec_lo, s4
	s_cbranch_execnz .LBB0_111
.LBB0_112:
	s_wait_alu 0xfffe
	s_or_b32 exec_lo, exec_lo, s6
	s_wait_loadcnt 0x0
	s_wait_kmcnt 0x0
	s_setpc_b64 s[30:31]
.LBB0_113:
	s_cbranch_execnz .LBB0_86
.LBB0_114:
	s_wait_loadcnt 0x0
	s_wait_kmcnt 0x0
	s_setpc_b64 s[30:31]
.Lfunc_end0:
	.size	__ockl_fprintf_append_string_n, .Lfunc_end0-__ockl_fprintf_append_string_n
                                        ; -- End function
	.set .L__ockl_fprintf_append_string_n.num_vgpr, 39
	.set .L__ockl_fprintf_append_string_n.num_agpr, 0
	.set .L__ockl_fprintf_append_string_n.numbered_sgpr, 32
	.set .L__ockl_fprintf_append_string_n.num_named_barrier, 0
	.set .L__ockl_fprintf_append_string_n.private_seg_size, 0
	.set .L__ockl_fprintf_append_string_n.uses_vcc, 1
	.set .L__ockl_fprintf_append_string_n.uses_flat_scratch, 0
	.set .L__ockl_fprintf_append_string_n.has_dyn_sized_stack, 0
	.set .L__ockl_fprintf_append_string_n.has_recursion, 0
	.set .L__ockl_fprintf_append_string_n.has_indirect_call, 0
	.section	.AMDGPU.csdata,"",@progbits
; Function info:
; codeLenInByte = 5312
; TotalNumSgprs: 34
; NumVgprs: 39
; ScratchSize: 0
; MemoryBound: 0
	.text
	.p2align	2                               ; -- Begin function __assert_fail
	.type	__assert_fail,@function
__assert_fail:                          ; @__assert_fail
; %bb.0:
	s_wait_loadcnt_dscnt 0x0
	s_wait_expcnt 0x0
	s_wait_samplecnt 0x0
	s_wait_bvhcnt 0x0
	s_wait_kmcnt 0x0
	s_mov_b32 s20, s33
	s_mov_b32 s33, s32
	s_or_saveexec_b32 s0, -1
	scratch_store_b32 off, v40, s33 offset:48 ; 4-byte Folded Spill
	s_wait_alu 0xfffe
	s_mov_b32 exec_lo, s0
	v_writelane_b32 v40, s30, 0
	s_add_co_i32 s32, s32, 64
	v_writelane_b32 v40, s31, 1
	v_dual_mov_b32 v5, v1 :: v_dual_mov_b32 v4, v0
	v_mov_b32_e32 v0, 0
	s_getpc_b64 s[0:1]
	s_wait_alu 0xfffe
	s_sext_i32_i16 s1, s1
	s_add_co_u32 s0, s0, __const.__assert_fail.fmt@rel32@lo+43
	s_wait_alu 0xfffe
	s_add_co_ci_u32 s1, s1, __const.__assert_fail.fmt@rel32@hi+55
	v_mbcnt_lo_u32_b32 v37, -1, 0
	v_mov_b32_e32 v6, 0
	v_mov_b32_e32 v7, 0
	global_load_b128 v[8:11], v0, s[0:1]
	s_getpc_b64 s[0:1]
	s_wait_alu 0xfffe
	s_sext_i32_i16 s1, s1
	s_add_co_u32 s0, s0, __const.__assert_fail.fmt@rel32@lo+12
	s_wait_alu 0xfffe
	s_add_co_ci_u32 s1, s1, __const.__assert_fail.fmt@rel32@hi+24
	s_getpc_b64 s[2:3]
	s_wait_alu 0xfffe
	s_sext_i32_i16 s3, s3
	s_add_co_u32 s2, s2, __const.__assert_fail.fmt@rel32@lo+28
	s_wait_alu 0xfffe
	s_add_co_ci_u32 s3, s3, __const.__assert_fail.fmt@rel32@hi+40
	s_clause 0x1
	s_load_b128 s[4:7], s[0:1], 0x0
	s_load_b128 s[12:15], s[2:3], 0x0
	s_load_b64 s[2:3], s[8:9], 0x50
	v_readfirstlane_b32 s0, v37
	s_wait_alu 0xf1ff
	s_delay_alu instid0(VALU_DEP_1)
	v_cmp_eq_u32_e64 s0, s0, v37
	s_wait_kmcnt 0x0
	v_dual_mov_b32 v15, s7 :: v_dual_mov_b32 v12, s4
	v_dual_mov_b32 v19, s15 :: v_dual_mov_b32 v14, s6
	;; [unrolled: 1-line block ×4, first 2 shown]
	s_clause 0x1
	scratch_store_b128 off, v[12:15], s33
	scratch_store_b128 off, v[16:19], s33 offset:16
	s_wait_loadcnt 0x0
	scratch_store_b128 off, v[8:11], s33 offset:31
	s_and_saveexec_b32 s1, s0
	s_cbranch_execz .LBB1_6
; %bb.1:
	global_load_b64 v[8:9], v0, s[2:3] offset:24 scope:SCOPE_SYS
	s_wait_loadcnt 0x0
	global_inv scope:SCOPE_SYS
	s_clause 0x1
	global_load_b64 v[1:2], v0, s[2:3] offset:40
	global_load_b64 v[6:7], v0, s[2:3]
	s_mov_b32 s4, exec_lo
	s_wait_loadcnt 0x1
	v_and_b32_e32 v2, v2, v9
	v_and_b32_e32 v1, v1, v8
	s_delay_alu instid0(VALU_DEP_2) | instskip(NEXT) | instid1(VALU_DEP_2)
	v_mul_lo_u32 v2, 24, v2
	v_mul_lo_u32 v3, 0, v1
	v_mul_hi_u32 v10, 24, v1
	v_mul_lo_u32 v1, 24, v1
	s_delay_alu instid0(VALU_DEP_3) | instskip(SKIP_1) | instid1(VALU_DEP_2)
	v_add_nc_u32_e32 v2, v2, v3
	s_wait_loadcnt 0x0
	v_add_co_u32 v1, vcc_lo, v6, v1
	s_delay_alu instid0(VALU_DEP_2) | instskip(SKIP_1) | instid1(VALU_DEP_1)
	v_add_nc_u32_e32 v2, v2, v10
	s_wait_alu 0xfffd
	v_add_co_ci_u32_e64 v2, null, v7, v2, vcc_lo
	global_load_b64 v[6:7], v[1:2], off scope:SCOPE_SYS
	s_wait_loadcnt 0x0
	global_atomic_cmpswap_b64 v[6:7], v0, v[6:9], s[2:3] offset:24 th:TH_ATOMIC_RETURN scope:SCOPE_SYS
	s_wait_loadcnt 0x0
	global_inv scope:SCOPE_SYS
	v_cmpx_ne_u64_e64 v[6:7], v[8:9]
	s_cbranch_execz .LBB1_5
; %bb.2:
	v_mov_b32_e32 v1, 0
	s_mov_b32 s5, 0
.LBB1_3:                                ; =>This Inner Loop Header: Depth=1
	s_sleep 1
	s_clause 0x1
	global_load_b64 v[2:3], v1, s[2:3] offset:40
	global_load_b64 v[10:11], v1, s[2:3]
	v_dual_mov_b32 v9, v7 :: v_dual_mov_b32 v8, v6
	s_wait_loadcnt 0x1
	s_delay_alu instid0(VALU_DEP_1) | instskip(NEXT) | instid1(VALU_DEP_2)
	v_and_b32_e32 v2, v2, v8
	v_and_b32_e32 v3, v3, v9
	s_wait_loadcnt 0x0
	s_delay_alu instid0(VALU_DEP_2) | instskip(NEXT) | instid1(VALU_DEP_1)
	v_mad_co_u64_u32 v[6:7], null, v2, 24, v[10:11]
	v_mov_b32_e32 v2, v7
	s_delay_alu instid0(VALU_DEP_1) | instskip(NEXT) | instid1(VALU_DEP_1)
	v_mad_co_u64_u32 v[2:3], null, v3, 24, v[2:3]
	v_mov_b32_e32 v7, v2
	global_load_b64 v[6:7], v[6:7], off scope:SCOPE_SYS
	s_wait_loadcnt 0x0
	global_atomic_cmpswap_b64 v[6:7], v1, v[6:9], s[2:3] offset:24 th:TH_ATOMIC_RETURN scope:SCOPE_SYS
	s_wait_loadcnt 0x0
	global_inv scope:SCOPE_SYS
	v_cmp_eq_u64_e32 vcc_lo, v[6:7], v[8:9]
	s_wait_alu 0xfffe
	s_or_b32 s5, vcc_lo, s5
	s_wait_alu 0xfffe
	s_and_not1_b32 exec_lo, exec_lo, s5
	s_cbranch_execnz .LBB1_3
; %bb.4:
	s_or_b32 exec_lo, exec_lo, s5
.LBB1_5:
	s_wait_alu 0xfffe
	s_or_b32 exec_lo, exec_lo, s4
.LBB1_6:
	s_wait_alu 0xfffe
	s_or_b32 exec_lo, exec_lo, s1
	s_clause 0x1
	global_load_b64 v[8:9], v0, s[2:3] offset:40
	global_load_b128 v[0:3], v0, s[2:3]
	v_readfirstlane_b32 s5, v7
	v_readfirstlane_b32 s4, v6
	s_mov_b32 s1, exec_lo
	s_wait_loadcnt 0x1
	s_wait_alu 0xf1ff
	v_and_b32_e32 v7, s5, v9
	v_and_b32_e32 v6, s4, v8
	s_delay_alu instid0(VALU_DEP_2) | instskip(NEXT) | instid1(VALU_DEP_2)
	v_mul_lo_u32 v8, 24, v7
	v_mul_lo_u32 v9, 0, v6
	v_mul_hi_u32 v10, 24, v6
	v_mul_lo_u32 v11, 24, v6
	s_delay_alu instid0(VALU_DEP_3) | instskip(NEXT) | instid1(VALU_DEP_1)
	v_add_nc_u32_e32 v8, v8, v9
	v_add_nc_u32_e32 v8, v8, v10
	s_wait_loadcnt 0x0
	s_delay_alu instid0(VALU_DEP_3) | instskip(SKIP_1) | instid1(VALU_DEP_2)
	v_add_co_u32 v10, vcc_lo, v0, v11
	s_wait_alu 0xfffd
	v_add_co_ci_u32_e64 v11, null, v1, v8, vcc_lo
	s_and_saveexec_b32 s6, s0
	s_cbranch_execz .LBB1_8
; %bb.7:
	s_wait_alu 0xfffe
	v_dual_mov_b32 v12, s1 :: v_dual_mov_b32 v13, 0
	v_dual_mov_b32 v14, 2 :: v_dual_mov_b32 v15, 1
	global_store_b128 v[10:11], v[12:15], off offset:8
.LBB1_8:
	s_wait_alu 0xfffe
	s_or_b32 exec_lo, exec_lo, s6
	v_lshlrev_b64_e32 v[12:13], 12, v[6:7]
	v_dual_mov_b32 v7, 0 :: v_dual_lshlrev_b32 v36, 6, v37
	s_mov_b32 s12, 0
	v_mov_b32_e32 v6, 33
	s_wait_alu 0xfffe
	s_mov_b32 s15, s12
	v_add_co_u32 v2, vcc_lo, v2, v12
	s_wait_alu 0xfffd
	v_add_co_ci_u32_e64 v3, null, v3, v13, vcc_lo
	s_mov_b32 s13, s12
	v_add_co_u32 v12, vcc_lo, v2, v36
	s_mov_b32 s14, s12
	s_wait_alu 0xfffe
	v_dual_mov_b32 v8, 1 :: v_dual_mov_b32 v17, s15
	v_mov_b32_e32 v9, v7
	v_readfirstlane_b32 s6, v2
	v_readfirstlane_b32 s7, v3
	s_wait_alu 0xfffd
	v_add_co_ci_u32_e64 v13, null, 0, v3, vcc_lo
	v_dual_mov_b32 v16, s14 :: v_dual_mov_b32 v15, s13
	v_mov_b32_e32 v14, s12
	s_clause 0x3
	global_store_b128 v36, v[6:9], s[6:7]
	global_store_b128 v36, v[14:17], s[6:7] offset:16
	global_store_b128 v36, v[14:17], s[6:7] offset:32
	;; [unrolled: 1-line block ×3, first 2 shown]
	s_and_saveexec_b32 s1, s0
	s_cbranch_execz .LBB1_16
; %bb.9:
	s_clause 0x1
	global_load_b64 v[16:17], v7, s[2:3] offset:32 scope:SCOPE_SYS
	global_load_b64 v[2:3], v7, s[2:3] offset:40
	s_mov_b32 s6, exec_lo
	v_dual_mov_b32 v14, s4 :: v_dual_mov_b32 v15, s5
	s_wait_loadcnt 0x0
	v_and_b32_e32 v2, s4, v2
	v_and_b32_e32 v3, s5, v3
	s_delay_alu instid0(VALU_DEP_2) | instskip(NEXT) | instid1(VALU_DEP_2)
	v_mul_lo_u32 v6, 0, v2
	v_mul_lo_u32 v3, 24, v3
	v_mul_hi_u32 v8, 24, v2
	v_mul_lo_u32 v2, 24, v2
	s_delay_alu instid0(VALU_DEP_3) | instskip(NEXT) | instid1(VALU_DEP_1)
	v_add_nc_u32_e32 v3, v3, v6
	v_add_nc_u32_e32 v3, v3, v8
	s_delay_alu instid0(VALU_DEP_3) | instskip(SKIP_1) | instid1(VALU_DEP_2)
	v_add_co_u32 v8, vcc_lo, v0, v2
	s_wait_alu 0xfffd
	v_add_co_ci_u32_e64 v9, null, v1, v3, vcc_lo
	global_store_b64 v[8:9], v[16:17], off
	global_wb scope:SCOPE_SYS
	s_wait_storecnt 0x0
	global_atomic_cmpswap_b64 v[2:3], v7, v[14:17], s[2:3] offset:32 th:TH_ATOMIC_RETURN scope:SCOPE_SYS
	s_wait_loadcnt 0x0
	v_cmpx_ne_u64_e64 v[2:3], v[16:17]
	s_cbranch_execz .LBB1_12
; %bb.10:
	v_mov_b32_e32 v6, 0
	s_mov_b32 s7, 0
.LBB1_11:                               ; =>This Inner Loop Header: Depth=1
	v_dual_mov_b32 v0, s4 :: v_dual_mov_b32 v1, s5
	s_sleep 1
	global_store_b64 v[8:9], v[2:3], off
	global_wb scope:SCOPE_SYS
	s_wait_storecnt 0x0
	global_atomic_cmpswap_b64 v[0:1], v6, v[0:3], s[2:3] offset:32 th:TH_ATOMIC_RETURN scope:SCOPE_SYS
	s_wait_loadcnt 0x0
	v_cmp_eq_u64_e32 vcc_lo, v[0:1], v[2:3]
	v_dual_mov_b32 v3, v1 :: v_dual_mov_b32 v2, v0
	s_wait_alu 0xfffe
	s_or_b32 s7, vcc_lo, s7
	s_wait_alu 0xfffe
	s_and_not1_b32 exec_lo, exec_lo, s7
	s_cbranch_execnz .LBB1_11
.LBB1_12:
	s_wait_alu 0xfffe
	s_or_b32 exec_lo, exec_lo, s6
	v_mov_b32_e32 v3, 0
	s_mov_b32 s7, exec_lo
	s_mov_b32 s6, exec_lo
	s_wait_alu 0xfffe
	v_mbcnt_lo_u32_b32 v2, s7, 0
	global_load_b64 v[0:1], v3, s[2:3] offset:16
	v_cmpx_eq_u32_e32 0, v2
	s_cbranch_execz .LBB1_14
; %bb.13:
	s_bcnt1_i32_b32 s7, s7
	s_wait_alu 0xfffe
	v_mov_b32_e32 v2, s7
	global_wb scope:SCOPE_SYS
	s_wait_loadcnt 0x0
	s_wait_storecnt 0x0
	global_atomic_add_u64 v[0:1], v[2:3], off offset:8 scope:SCOPE_SYS
.LBB1_14:
	s_or_b32 exec_lo, exec_lo, s6
	s_wait_loadcnt 0x0
	global_load_b64 v[2:3], v[0:1], off offset:16
	s_wait_loadcnt 0x0
	v_cmp_eq_u64_e32 vcc_lo, 0, v[2:3]
	s_cbranch_vccnz .LBB1_16
; %bb.15:
	global_load_b32 v0, v[0:1], off offset:24
	v_mov_b32_e32 v1, 0
	s_wait_loadcnt 0x0
	v_readfirstlane_b32 s6, v0
	global_wb scope:SCOPE_SYS
	s_wait_storecnt 0x0
	global_store_b64 v[2:3], v[0:1], off scope:SCOPE_SYS
	s_and_b32 m0, s6, 0xffffff
	s_sendmsg sendmsg(MSG_INTERRUPT)
.LBB1_16:
	s_wait_alu 0xfffe
	s_or_b32 exec_lo, exec_lo, s1
	s_branch .LBB1_20
.LBB1_17:                               ;   in Loop: Header=BB1_20 Depth=1
	s_wait_alu 0xfffe
	s_or_b32 exec_lo, exec_lo, s1
	s_delay_alu instid0(VALU_DEP_1)
	v_readfirstlane_b32 s1, v0
	s_cmp_eq_u32 s1, 0
	s_cbranch_scc1 .LBB1_19
; %bb.18:                               ;   in Loop: Header=BB1_20 Depth=1
	s_sleep 1
	s_cbranch_execnz .LBB1_20
	s_branch .LBB1_22
.LBB1_19:
	s_branch .LBB1_22
.LBB1_20:                               ; =>This Inner Loop Header: Depth=1
	v_mov_b32_e32 v0, 1
	s_and_saveexec_b32 s1, s0
	s_cbranch_execz .LBB1_17
; %bb.21:                               ;   in Loop: Header=BB1_20 Depth=1
	global_load_b32 v0, v[10:11], off offset:20 scope:SCOPE_SYS
	s_wait_loadcnt 0x0
	global_inv scope:SCOPE_SYS
	v_and_b32_e32 v0, 1, v0
	s_branch .LBB1_17
.LBB1_22:
	global_load_b64 v[6:7], v[12:13], off
	s_and_saveexec_b32 s6, s0
	s_cbranch_execz .LBB1_26
; %bb.23:
	v_mov_b32_e32 v10, 0
	s_clause 0x2
	global_load_b64 v[0:1], v10, s[2:3] offset:40
	global_load_b64 v[13:14], v10, s[2:3] offset:24 scope:SCOPE_SYS
	global_load_b64 v[2:3], v10, s[2:3]
	s_wait_loadcnt 0x2
	v_readfirstlane_b32 s10, v0
	v_readfirstlane_b32 s11, v1
	s_add_nc_u64 s[0:1], s[10:11], 1
	s_wait_alu 0xfffe
	s_add_nc_u64 s[4:5], s[0:1], s[4:5]
	s_wait_alu 0xfffe
	s_cmp_eq_u64 s[4:5], 0
	s_cselect_b32 s1, s1, s5
	s_cselect_b32 s0, s0, s4
	s_wait_alu 0xfffe
	v_mov_b32_e32 v12, s1
	s_and_b64 s[4:5], s[0:1], s[10:11]
	v_mov_b32_e32 v11, s0
	s_wait_alu 0xfffe
	s_mul_u64 s[4:5], s[4:5], 24
	s_wait_loadcnt 0x0
	s_wait_alu 0xfffe
	v_add_co_u32 v8, vcc_lo, v2, s4
	s_wait_alu 0xfffd
	v_add_co_ci_u32_e64 v9, null, s5, v3, vcc_lo
	global_store_b64 v[8:9], v[13:14], off
	global_wb scope:SCOPE_SYS
	s_wait_storecnt 0x0
	global_atomic_cmpswap_b64 v[2:3], v10, v[11:14], s[2:3] offset:24 th:TH_ATOMIC_RETURN scope:SCOPE_SYS
	s_wait_loadcnt 0x0
	v_cmp_ne_u64_e32 vcc_lo, v[2:3], v[13:14]
	s_and_b32 exec_lo, exec_lo, vcc_lo
	s_cbranch_execz .LBB1_26
; %bb.24:
	s_mov_b32 s4, 0
.LBB1_25:                               ; =>This Inner Loop Header: Depth=1
	v_dual_mov_b32 v0, s0 :: v_dual_mov_b32 v1, s1
	s_sleep 1
	global_store_b64 v[8:9], v[2:3], off
	global_wb scope:SCOPE_SYS
	s_wait_storecnt 0x0
	global_atomic_cmpswap_b64 v[0:1], v10, v[0:3], s[2:3] offset:24 th:TH_ATOMIC_RETURN scope:SCOPE_SYS
	s_wait_loadcnt 0x0
	v_cmp_eq_u64_e32 vcc_lo, v[0:1], v[2:3]
	v_dual_mov_b32 v3, v1 :: v_dual_mov_b32 v2, v0
	s_wait_alu 0xfffe
	s_or_b32 s4, vcc_lo, s4
	s_wait_alu 0xfffe
	s_and_not1_b32 exec_lo, exec_lo, s4
	s_cbranch_execnz .LBB1_25
.LBB1_26:
	s_wait_alu 0xfffe
	s_or_b32 exec_lo, exec_lo, s6
	s_mov_b32 s1, s33
	s_mov_b32 s0, 0
.LBB1_27:                               ; =>This Inner Loop Header: Depth=1
	scratch_load_u8 v0, off, s1
	s_wait_alu 0xfffe
	s_add_co_i32 s1, s1, 1
	s_wait_loadcnt 0x0
	v_cmp_eq_u16_e32 vcc_lo, 0, v0
	s_wait_alu 0xfffe
	v_mov_b32_e32 v0, s1
	s_or_b32 s0, vcc_lo, s0
	s_wait_alu 0xfffe
	s_and_not1_b32 exec_lo, exec_lo, s0
	s_cbranch_execnz .LBB1_27
; %bb.28:
	s_or_b32 exec_lo, exec_lo, s0
	s_cmp_lg_u32 s33, -1
	s_cbranch_scc0 .LBB1_113
; %bb.29:
	v_subrev_nc_u32_e32 v28, s33, v0
	v_dual_mov_b32 v9, 0 :: v_dual_and_b32 v38, 2, v6
	v_dual_mov_b32 v1, v7 :: v_dual_and_b32 v0, -3, v6
	s_delay_alu instid0(VALU_DEP_3)
	v_ashrrev_i32_e32 v29, 31, v28
	v_dual_mov_b32 v39, s33 :: v_dual_mov_b32 v10, 2
	v_mov_b32_e32 v11, 1
	s_mov_b32 s7, 0
	s_mov_b32 s6, 0
	s_branch .LBB1_31
.LBB1_30:                               ;   in Loop: Header=BB1_31 Depth=1
	s_wait_alu 0xfffe
	s_or_b32 exec_lo, exec_lo, s10
	v_sub_co_u32 v28, vcc_lo, v28, v30
	s_wait_alu 0xfffd
	v_sub_co_ci_u32_e64 v29, null, v29, v31, vcc_lo
	v_add_nc_u32_e32 v39, v39, v30
	s_delay_alu instid0(VALU_DEP_2)
	v_cmp_eq_u64_e32 vcc_lo, 0, v[28:29]
	s_or_b32 s6, vcc_lo, s6
	s_wait_alu 0xfffe
	s_and_not1_b32 exec_lo, exec_lo, s6
	s_cbranch_execz .LBB1_114
.LBB1_31:                               ; =>This Loop Header: Depth=1
                                        ;     Child Loop BB1_34 Depth 2
                                        ;     Child Loop BB1_42 Depth 2
                                        ;     Child Loop BB1_50 Depth 2
                                        ;     Child Loop BB1_58 Depth 2
                                        ;     Child Loop BB1_66 Depth 2
                                        ;     Child Loop BB1_74 Depth 2
                                        ;     Child Loop BB1_82 Depth 2
                                        ;     Child Loop BB1_90 Depth 2
                                        ;     Child Loop BB1_98 Depth 2
                                        ;     Child Loop BB1_107 Depth 2
                                        ;     Child Loop BB1_112 Depth 2
	v_cmp_gt_u64_e32 vcc_lo, 56, v[28:29]
	v_add_nc_u32_e32 v14, 8, v39
	s_mov_b32 s1, exec_lo
	s_wait_alu 0xfffd
	v_dual_cndmask_b32 v31, 0, v29 :: v_dual_cndmask_b32 v30, 56, v28
	v_cmpx_gt_u64_e32 8, v[28:29]
	s_wait_alu 0xfffe
	s_xor_b32 s4, exec_lo, s1
	s_cbranch_execz .LBB1_37
; %bb.32:                               ;   in Loop: Header=BB1_31 Depth=1
	v_mov_b32_e32 v2, 0
	v_mov_b32_e32 v3, 0
	s_mov_b32 s5, exec_lo
	v_cmpx_ne_u64_e32 0, v[28:29]
	s_cbranch_execz .LBB1_36
; %bb.33:                               ;   in Loop: Header=BB1_31 Depth=1
	v_lshlrev_b64_e32 v[12:13], 3, v[30:31]
	v_mov_b32_e32 v2, 0
	v_dual_mov_b32 v3, 0 :: v_dual_mov_b32 v8, v39
	s_mov_b64 s[0:1], 0
	s_mov_b32 s10, 0
.LBB1_34:                               ;   Parent Loop BB1_31 Depth=1
                                        ; =>  This Inner Loop Header: Depth=2
	scratch_load_u8 v13, v8, off
	v_mov_b32_e32 v14, s7
	v_add_nc_u32_e32 v8, 1, v8
	s_wait_loadcnt 0x0
	v_and_b32_e32 v13, 0xffff, v13
	s_wait_alu 0xfffe
	s_delay_alu instid0(VALU_DEP_1) | instskip(SKIP_3) | instid1(VALU_DEP_2)
	v_lshlrev_b64_e32 v[13:14], s0, v[13:14]
	s_add_nc_u64 s[0:1], s[0:1], 8
	s_wait_alu 0xfffe
	v_cmp_eq_u32_e32 vcc_lo, s0, v12
	v_or_b32_e32 v3, v14, v3
	s_delay_alu instid0(VALU_DEP_3)
	v_or_b32_e32 v2, v13, v2
	s_or_b32 s10, vcc_lo, s10
	s_wait_alu 0xfffe
	s_and_not1_b32 exec_lo, exec_lo, s10
	s_cbranch_execnz .LBB1_34
; %bb.35:                               ;   in Loop: Header=BB1_31 Depth=1
	s_or_b32 exec_lo, exec_lo, s10
.LBB1_36:                               ;   in Loop: Header=BB1_31 Depth=1
	s_wait_alu 0xfffe
	s_or_b32 exec_lo, exec_lo, s5
	v_mov_b32_e32 v14, v39
.LBB1_37:                               ;   in Loop: Header=BB1_31 Depth=1
	s_wait_alu 0xfffe
	s_or_saveexec_b32 s0, s4
	v_mov_b32_e32 v15, 0
	s_wait_alu 0xfffe
	s_xor_b32 exec_lo, exec_lo, s0
	s_cbranch_execz .LBB1_39
; %bb.38:                               ;   in Loop: Header=BB1_31 Depth=1
	scratch_load_b64 v[2:3], v39, off
	v_add_nc_u32_e32 v15, -8, v30
.LBB1_39:                               ;   in Loop: Header=BB1_31 Depth=1
	s_or_b32 exec_lo, exec_lo, s0
	v_add_nc_u32_e32 v8, 8, v14
                                        ; implicit-def: $vgpr12_vgpr13
	s_mov_b32 s0, exec_lo
	s_delay_alu instid0(VALU_DEP_2)
	v_cmpx_gt_u32_e32 8, v15
	s_wait_alu 0xfffe
	s_xor_b32 s4, exec_lo, s0
	s_cbranch_execz .LBB1_45
; %bb.40:                               ;   in Loop: Header=BB1_31 Depth=1
	v_mov_b32_e32 v12, 0
	v_mov_b32_e32 v13, 0
	s_mov_b32 s5, exec_lo
	v_cmpx_ne_u32_e32 0, v15
	s_cbranch_execz .LBB1_44
; %bb.41:                               ;   in Loop: Header=BB1_31 Depth=1
	v_mov_b32_e32 v12, 0
	v_mov_b32_e32 v13, 0
	s_mov_b64 s[0:1], 0
	s_mov_b32 s10, 0
	s_mov_b32 s11, 0
.LBB1_42:                               ;   Parent Loop BB1_31 Depth=1
                                        ; =>  This Inner Loop Header: Depth=2
	scratch_load_u8 v8, v14, s11
	v_mov_b32_e32 v17, s7
	s_wait_alu 0xfffe
	s_add_co_i32 s11, s11, 1
	s_wait_alu 0xfffe
	v_cmp_eq_u32_e32 vcc_lo, s11, v15
	s_or_b32 s10, vcc_lo, s10
	s_wait_loadcnt 0x0
	v_and_b32_e32 v16, 0xffff, v8
	s_delay_alu instid0(VALU_DEP_1) | instskip(SKIP_1) | instid1(VALU_DEP_1)
	v_lshlrev_b64_e32 v[16:17], s0, v[16:17]
	s_add_nc_u64 s[0:1], s[0:1], 8
	v_or_b32_e32 v13, v17, v13
	s_delay_alu instid0(VALU_DEP_2)
	v_or_b32_e32 v12, v16, v12
	s_wait_alu 0xfffe
	s_and_not1_b32 exec_lo, exec_lo, s10
	s_cbranch_execnz .LBB1_42
; %bb.43:                               ;   in Loop: Header=BB1_31 Depth=1
	s_or_b32 exec_lo, exec_lo, s10
.LBB1_44:                               ;   in Loop: Header=BB1_31 Depth=1
	s_wait_alu 0xfffe
	s_or_b32 exec_lo, exec_lo, s5
	v_mov_b32_e32 v8, v14
                                        ; implicit-def: $vgpr15
.LBB1_45:                               ;   in Loop: Header=BB1_31 Depth=1
	s_wait_alu 0xfffe
	s_or_saveexec_b32 s0, s4
	v_mov_b32_e32 v16, 0
	s_wait_alu 0xfffe
	s_xor_b32 exec_lo, exec_lo, s0
	s_cbranch_execz .LBB1_47
; %bb.46:                               ;   in Loop: Header=BB1_31 Depth=1
	scratch_load_b64 v[12:13], v14, off
	v_add_nc_u32_e32 v16, -8, v15
.LBB1_47:                               ;   in Loop: Header=BB1_31 Depth=1
	s_or_b32 exec_lo, exec_lo, s0
	v_add_nc_u32_e32 v18, 8, v8
	s_mov_b32 s0, exec_lo
	s_delay_alu instid0(VALU_DEP_2)
	v_cmpx_gt_u32_e32 8, v16
	s_wait_alu 0xfffe
	s_xor_b32 s4, exec_lo, s0
	s_cbranch_execz .LBB1_53
; %bb.48:                               ;   in Loop: Header=BB1_31 Depth=1
	v_mov_b32_e32 v14, 0
	v_mov_b32_e32 v15, 0
	s_mov_b32 s5, exec_lo
	v_cmpx_ne_u32_e32 0, v16
	s_cbranch_execz .LBB1_52
; %bb.49:                               ;   in Loop: Header=BB1_31 Depth=1
	v_mov_b32_e32 v14, 0
	v_mov_b32_e32 v15, 0
	s_mov_b64 s[0:1], 0
	s_mov_b32 s10, 0
	s_mov_b32 s11, 0
.LBB1_50:                               ;   Parent Loop BB1_31 Depth=1
                                        ; =>  This Inner Loop Header: Depth=2
	scratch_load_u8 v17, v8, s11
	v_mov_b32_e32 v18, s7
	s_wait_alu 0xfffe
	s_add_co_i32 s11, s11, 1
	s_wait_alu 0xfffe
	v_cmp_eq_u32_e32 vcc_lo, s11, v16
	s_or_b32 s10, vcc_lo, s10
	s_wait_loadcnt 0x0
	v_and_b32_e32 v17, 0xffff, v17
	s_delay_alu instid0(VALU_DEP_1) | instskip(SKIP_1) | instid1(VALU_DEP_1)
	v_lshlrev_b64_e32 v[17:18], s0, v[17:18]
	s_add_nc_u64 s[0:1], s[0:1], 8
	v_or_b32_e32 v15, v18, v15
	s_delay_alu instid0(VALU_DEP_2)
	v_or_b32_e32 v14, v17, v14
	s_wait_alu 0xfffe
	s_and_not1_b32 exec_lo, exec_lo, s10
	s_cbranch_execnz .LBB1_50
; %bb.51:                               ;   in Loop: Header=BB1_31 Depth=1
	s_or_b32 exec_lo, exec_lo, s10
.LBB1_52:                               ;   in Loop: Header=BB1_31 Depth=1
	s_wait_alu 0xfffe
	s_or_b32 exec_lo, exec_lo, s5
	v_mov_b32_e32 v18, v8
                                        ; implicit-def: $vgpr16
.LBB1_53:                               ;   in Loop: Header=BB1_31 Depth=1
	s_wait_alu 0xfffe
	s_or_saveexec_b32 s0, s4
	v_mov_b32_e32 v19, 0
	s_wait_alu 0xfffe
	s_xor_b32 exec_lo, exec_lo, s0
	s_cbranch_execz .LBB1_55
; %bb.54:                               ;   in Loop: Header=BB1_31 Depth=1
	scratch_load_b64 v[14:15], v8, off
	v_add_nc_u32_e32 v19, -8, v16
.LBB1_55:                               ;   in Loop: Header=BB1_31 Depth=1
	s_or_b32 exec_lo, exec_lo, s0
	v_add_nc_u32_e32 v8, 8, v18
                                        ; implicit-def: $vgpr16_vgpr17
	s_mov_b32 s0, exec_lo
	s_delay_alu instid0(VALU_DEP_2)
	v_cmpx_gt_u32_e32 8, v19
	s_wait_alu 0xfffe
	s_xor_b32 s4, exec_lo, s0
	s_cbranch_execz .LBB1_61
; %bb.56:                               ;   in Loop: Header=BB1_31 Depth=1
	v_mov_b32_e32 v16, 0
	v_mov_b32_e32 v17, 0
	s_mov_b32 s5, exec_lo
	v_cmpx_ne_u32_e32 0, v19
	s_cbranch_execz .LBB1_60
; %bb.57:                               ;   in Loop: Header=BB1_31 Depth=1
	v_mov_b32_e32 v16, 0
	v_mov_b32_e32 v17, 0
	s_mov_b64 s[0:1], 0
	s_mov_b32 s10, 0
	s_mov_b32 s11, 0
.LBB1_58:                               ;   Parent Loop BB1_31 Depth=1
                                        ; =>  This Inner Loop Header: Depth=2
	scratch_load_u8 v8, v18, s11
	v_mov_b32_e32 v21, s7
	s_wait_alu 0xfffe
	s_add_co_i32 s11, s11, 1
	s_wait_alu 0xfffe
	v_cmp_eq_u32_e32 vcc_lo, s11, v19
	s_or_b32 s10, vcc_lo, s10
	s_wait_loadcnt 0x0
	v_and_b32_e32 v20, 0xffff, v8
	s_delay_alu instid0(VALU_DEP_1) | instskip(SKIP_1) | instid1(VALU_DEP_1)
	v_lshlrev_b64_e32 v[20:21], s0, v[20:21]
	s_add_nc_u64 s[0:1], s[0:1], 8
	v_or_b32_e32 v17, v21, v17
	s_delay_alu instid0(VALU_DEP_2)
	v_or_b32_e32 v16, v20, v16
	s_wait_alu 0xfffe
	s_and_not1_b32 exec_lo, exec_lo, s10
	s_cbranch_execnz .LBB1_58
; %bb.59:                               ;   in Loop: Header=BB1_31 Depth=1
	s_or_b32 exec_lo, exec_lo, s10
.LBB1_60:                               ;   in Loop: Header=BB1_31 Depth=1
	s_wait_alu 0xfffe
	s_or_b32 exec_lo, exec_lo, s5
	v_mov_b32_e32 v8, v18
                                        ; implicit-def: $vgpr19
.LBB1_61:                               ;   in Loop: Header=BB1_31 Depth=1
	s_wait_alu 0xfffe
	s_or_saveexec_b32 s0, s4
	v_mov_b32_e32 v20, 0
	s_wait_alu 0xfffe
	s_xor_b32 exec_lo, exec_lo, s0
	s_cbranch_execz .LBB1_63
; %bb.62:                               ;   in Loop: Header=BB1_31 Depth=1
	scratch_load_b64 v[16:17], v18, off
	v_add_nc_u32_e32 v20, -8, v19
.LBB1_63:                               ;   in Loop: Header=BB1_31 Depth=1
	s_or_b32 exec_lo, exec_lo, s0
	v_add_nc_u32_e32 v22, 8, v8
	s_mov_b32 s0, exec_lo
	s_delay_alu instid0(VALU_DEP_2)
	v_cmpx_gt_u32_e32 8, v20
	s_wait_alu 0xfffe
	s_xor_b32 s4, exec_lo, s0
	s_cbranch_execz .LBB1_69
; %bb.64:                               ;   in Loop: Header=BB1_31 Depth=1
	v_mov_b32_e32 v18, 0
	v_mov_b32_e32 v19, 0
	s_mov_b32 s5, exec_lo
	v_cmpx_ne_u32_e32 0, v20
	s_cbranch_execz .LBB1_68
; %bb.65:                               ;   in Loop: Header=BB1_31 Depth=1
	v_mov_b32_e32 v18, 0
	v_mov_b32_e32 v19, 0
	s_mov_b64 s[0:1], 0
	s_mov_b32 s10, 0
	s_mov_b32 s11, 0
.LBB1_66:                               ;   Parent Loop BB1_31 Depth=1
                                        ; =>  This Inner Loop Header: Depth=2
	scratch_load_u8 v21, v8, s11
	v_mov_b32_e32 v22, s7
	s_wait_alu 0xfffe
	s_add_co_i32 s11, s11, 1
	s_wait_alu 0xfffe
	v_cmp_eq_u32_e32 vcc_lo, s11, v20
	s_or_b32 s10, vcc_lo, s10
	s_wait_loadcnt 0x0
	v_and_b32_e32 v21, 0xffff, v21
	s_delay_alu instid0(VALU_DEP_1) | instskip(SKIP_1) | instid1(VALU_DEP_1)
	v_lshlrev_b64_e32 v[21:22], s0, v[21:22]
	s_add_nc_u64 s[0:1], s[0:1], 8
	v_or_b32_e32 v19, v22, v19
	s_delay_alu instid0(VALU_DEP_2)
	v_or_b32_e32 v18, v21, v18
	s_wait_alu 0xfffe
	s_and_not1_b32 exec_lo, exec_lo, s10
	s_cbranch_execnz .LBB1_66
; %bb.67:                               ;   in Loop: Header=BB1_31 Depth=1
	s_or_b32 exec_lo, exec_lo, s10
.LBB1_68:                               ;   in Loop: Header=BB1_31 Depth=1
	s_wait_alu 0xfffe
	s_or_b32 exec_lo, exec_lo, s5
	v_mov_b32_e32 v22, v8
                                        ; implicit-def: $vgpr20
.LBB1_69:                               ;   in Loop: Header=BB1_31 Depth=1
	s_wait_alu 0xfffe
	s_or_saveexec_b32 s0, s4
	v_mov_b32_e32 v23, 0
	s_wait_alu 0xfffe
	s_xor_b32 exec_lo, exec_lo, s0
	s_cbranch_execz .LBB1_71
; %bb.70:                               ;   in Loop: Header=BB1_31 Depth=1
	scratch_load_b64 v[18:19], v8, off
	v_add_nc_u32_e32 v23, -8, v20
.LBB1_71:                               ;   in Loop: Header=BB1_31 Depth=1
	s_or_b32 exec_lo, exec_lo, s0
	v_add_nc_u32_e32 v8, 8, v22
                                        ; implicit-def: $vgpr20_vgpr21
	s_mov_b32 s0, exec_lo
	s_delay_alu instid0(VALU_DEP_2)
	v_cmpx_gt_u32_e32 8, v23
	s_wait_alu 0xfffe
	s_xor_b32 s4, exec_lo, s0
	s_cbranch_execz .LBB1_77
; %bb.72:                               ;   in Loop: Header=BB1_31 Depth=1
	v_mov_b32_e32 v20, 0
	v_mov_b32_e32 v21, 0
	s_mov_b32 s5, exec_lo
	v_cmpx_ne_u32_e32 0, v23
	s_cbranch_execz .LBB1_76
; %bb.73:                               ;   in Loop: Header=BB1_31 Depth=1
	v_mov_b32_e32 v20, 0
	v_mov_b32_e32 v21, 0
	s_mov_b64 s[0:1], 0
	s_mov_b32 s10, 0
	s_mov_b32 s11, 0
.LBB1_74:                               ;   Parent Loop BB1_31 Depth=1
                                        ; =>  This Inner Loop Header: Depth=2
	scratch_load_u8 v8, v22, s11
	v_mov_b32_e32 v25, s7
	s_wait_alu 0xfffe
	s_add_co_i32 s11, s11, 1
	s_wait_alu 0xfffe
	v_cmp_eq_u32_e32 vcc_lo, s11, v23
	s_or_b32 s10, vcc_lo, s10
	s_wait_loadcnt 0x0
	v_and_b32_e32 v24, 0xffff, v8
	s_delay_alu instid0(VALU_DEP_1) | instskip(SKIP_1) | instid1(VALU_DEP_1)
	v_lshlrev_b64_e32 v[24:25], s0, v[24:25]
	s_add_nc_u64 s[0:1], s[0:1], 8
	v_or_b32_e32 v21, v25, v21
	s_delay_alu instid0(VALU_DEP_2)
	v_or_b32_e32 v20, v24, v20
	s_wait_alu 0xfffe
	s_and_not1_b32 exec_lo, exec_lo, s10
	s_cbranch_execnz .LBB1_74
; %bb.75:                               ;   in Loop: Header=BB1_31 Depth=1
	s_or_b32 exec_lo, exec_lo, s10
.LBB1_76:                               ;   in Loop: Header=BB1_31 Depth=1
	s_wait_alu 0xfffe
	s_or_b32 exec_lo, exec_lo, s5
	v_mov_b32_e32 v8, v22
                                        ; implicit-def: $vgpr23
.LBB1_77:                               ;   in Loop: Header=BB1_31 Depth=1
	s_wait_alu 0xfffe
	s_or_saveexec_b32 s0, s4
	v_mov_b32_e32 v24, 0
	s_wait_alu 0xfffe
	s_xor_b32 exec_lo, exec_lo, s0
	s_cbranch_execz .LBB1_79
; %bb.78:                               ;   in Loop: Header=BB1_31 Depth=1
	scratch_load_b64 v[20:21], v22, off
	v_add_nc_u32_e32 v24, -8, v23
.LBB1_79:                               ;   in Loop: Header=BB1_31 Depth=1
	s_or_b32 exec_lo, exec_lo, s0
	s_delay_alu instid0(SALU_CYCLE_1) | instskip(NEXT) | instid1(VALU_DEP_1)
	s_mov_b32 s0, exec_lo
	v_cmpx_gt_u32_e32 8, v24
	s_wait_alu 0xfffe
	s_xor_b32 s4, exec_lo, s0
	s_cbranch_execz .LBB1_85
; %bb.80:                               ;   in Loop: Header=BB1_31 Depth=1
	v_mov_b32_e32 v22, 0
	v_mov_b32_e32 v23, 0
	s_mov_b32 s5, exec_lo
	v_cmpx_ne_u32_e32 0, v24
	s_cbranch_execz .LBB1_84
; %bb.81:                               ;   in Loop: Header=BB1_31 Depth=1
	v_mov_b32_e32 v22, 0
	v_mov_b32_e32 v23, 0
	s_mov_b64 s[0:1], 0
	s_mov_b32 s10, 0
.LBB1_82:                               ;   Parent Loop BB1_31 Depth=1
                                        ; =>  This Inner Loop Header: Depth=2
	scratch_load_u8 v25, v8, off
	v_mov_b32_e32 v26, s7
	v_add_nc_u32_e32 v24, -1, v24
	v_add_nc_u32_e32 v8, 1, v8
	s_delay_alu instid0(VALU_DEP_2) | instskip(SKIP_4) | instid1(VALU_DEP_1)
	v_cmp_eq_u32_e32 vcc_lo, 0, v24
	s_wait_alu 0xfffe
	s_or_b32 s10, vcc_lo, s10
	s_wait_loadcnt 0x0
	v_and_b32_e32 v25, 0xffff, v25
	v_lshlrev_b64_e32 v[25:26], s0, v[25:26]
	s_add_nc_u64 s[0:1], s[0:1], 8
	s_delay_alu instid0(VALU_DEP_1) | instskip(NEXT) | instid1(VALU_DEP_2)
	v_or_b32_e32 v23, v26, v23
	v_or_b32_e32 v22, v25, v22
	s_wait_alu 0xfffe
	s_and_not1_b32 exec_lo, exec_lo, s10
	s_cbranch_execnz .LBB1_82
; %bb.83:                               ;   in Loop: Header=BB1_31 Depth=1
	s_or_b32 exec_lo, exec_lo, s10
.LBB1_84:                               ;   in Loop: Header=BB1_31 Depth=1
	s_wait_alu 0xfffe
	s_or_b32 exec_lo, exec_lo, s5
                                        ; implicit-def: $vgpr8
.LBB1_85:                               ;   in Loop: Header=BB1_31 Depth=1
	s_wait_alu 0xfffe
	s_and_not1_saveexec_b32 s0, s4
	s_cbranch_execz .LBB1_87
; %bb.86:                               ;   in Loop: Header=BB1_31 Depth=1
	scratch_load_b64 v[22:23], v8, off
.LBB1_87:                               ;   in Loop: Header=BB1_31 Depth=1
	s_wait_alu 0xfffe
	s_or_b32 exec_lo, exec_lo, s0
	v_readfirstlane_b32 s0, v37
	v_mov_b32_e32 v32, 0
	v_mov_b32_e32 v33, 0
	s_wait_alu 0xf1ff
	s_delay_alu instid0(VALU_DEP_3)
	v_cmp_eq_u32_e64 s0, s0, v37
	s_and_saveexec_b32 s1, s0
	s_cbranch_execz .LBB1_93
; %bb.88:                               ;   in Loop: Header=BB1_31 Depth=1
	global_load_b64 v[26:27], v9, s[2:3] offset:24 scope:SCOPE_SYS
	s_wait_loadcnt 0x0
	global_inv scope:SCOPE_SYS
	s_clause 0x1
	global_load_b64 v[24:25], v9, s[2:3] offset:40
	global_load_b64 v[32:33], v9, s[2:3]
	s_mov_b32 s4, exec_lo
	s_wait_loadcnt 0x1
	v_and_b32_e32 v8, v25, v27
	v_and_b32_e32 v24, v24, v26
	s_delay_alu instid0(VALU_DEP_2) | instskip(NEXT) | instid1(VALU_DEP_2)
	v_mul_lo_u32 v8, 24, v8
	v_mul_lo_u32 v25, 0, v24
	v_mul_hi_u32 v34, 24, v24
	v_mul_lo_u32 v24, 24, v24
	s_delay_alu instid0(VALU_DEP_3) | instskip(SKIP_1) | instid1(VALU_DEP_2)
	v_add_nc_u32_e32 v8, v8, v25
	s_wait_loadcnt 0x0
	v_add_co_u32 v24, vcc_lo, v32, v24
	s_delay_alu instid0(VALU_DEP_2) | instskip(SKIP_1) | instid1(VALU_DEP_1)
	v_add_nc_u32_e32 v8, v8, v34
	s_wait_alu 0xfffd
	v_add_co_ci_u32_e64 v25, null, v33, v8, vcc_lo
	global_load_b64 v[24:25], v[24:25], off scope:SCOPE_SYS
	s_wait_loadcnt 0x0
	global_atomic_cmpswap_b64 v[32:33], v9, v[24:27], s[2:3] offset:24 th:TH_ATOMIC_RETURN scope:SCOPE_SYS
	s_wait_loadcnt 0x0
	global_inv scope:SCOPE_SYS
	v_cmpx_ne_u64_e64 v[32:33], v[26:27]
	s_cbranch_execz .LBB1_92
; %bb.89:                               ;   in Loop: Header=BB1_31 Depth=1
	s_mov_b32 s5, 0
.LBB1_90:                               ;   Parent Loop BB1_31 Depth=1
                                        ; =>  This Inner Loop Header: Depth=2
	s_sleep 1
	s_clause 0x1
	global_load_b64 v[24:25], v9, s[2:3] offset:40
	global_load_b64 v[34:35], v9, s[2:3]
	v_dual_mov_b32 v26, v32 :: v_dual_mov_b32 v27, v33
	s_wait_loadcnt 0x1
	s_delay_alu instid0(VALU_DEP_1) | instskip(NEXT) | instid1(VALU_DEP_2)
	v_and_b32_e32 v8, v24, v26
	v_and_b32_e32 v24, v25, v27
	s_wait_loadcnt 0x0
	s_delay_alu instid0(VALU_DEP_2) | instskip(NEXT) | instid1(VALU_DEP_1)
	v_mad_co_u64_u32 v[32:33], null, v8, 24, v[34:35]
	v_mov_b32_e32 v8, v33
	s_delay_alu instid0(VALU_DEP_1) | instskip(NEXT) | instid1(VALU_DEP_1)
	v_mad_co_u64_u32 v[24:25], null, v24, 24, v[8:9]
	v_mov_b32_e32 v33, v24
	global_load_b64 v[24:25], v[32:33], off scope:SCOPE_SYS
	s_wait_loadcnt 0x0
	global_atomic_cmpswap_b64 v[32:33], v9, v[24:27], s[2:3] offset:24 th:TH_ATOMIC_RETURN scope:SCOPE_SYS
	s_wait_loadcnt 0x0
	global_inv scope:SCOPE_SYS
	v_cmp_eq_u64_e32 vcc_lo, v[32:33], v[26:27]
	s_wait_alu 0xfffe
	s_or_b32 s5, vcc_lo, s5
	s_wait_alu 0xfffe
	s_and_not1_b32 exec_lo, exec_lo, s5
	s_cbranch_execnz .LBB1_90
; %bb.91:                               ;   in Loop: Header=BB1_31 Depth=1
	s_or_b32 exec_lo, exec_lo, s5
.LBB1_92:                               ;   in Loop: Header=BB1_31 Depth=1
	s_wait_alu 0xfffe
	s_or_b32 exec_lo, exec_lo, s4
.LBB1_93:                               ;   in Loop: Header=BB1_31 Depth=1
	s_wait_alu 0xfffe
	s_or_b32 exec_lo, exec_lo, s1
	s_clause 0x1
	global_load_b64 v[34:35], v9, s[2:3] offset:40
	global_load_b128 v[24:27], v9, s[2:3]
	v_readfirstlane_b32 s5, v33
	v_readfirstlane_b32 s4, v32
	s_mov_b32 s1, exec_lo
	s_wait_loadcnt 0x1
	s_wait_alu 0xf1ff
	v_and_b32_e32 v35, s5, v35
	v_and_b32_e32 v34, s4, v34
	s_delay_alu instid0(VALU_DEP_2) | instskip(NEXT) | instid1(VALU_DEP_2)
	v_mul_lo_u32 v8, 24, v35
	v_mul_lo_u32 v32, 0, v34
	v_mul_hi_u32 v33, 24, v34
	v_mul_lo_u32 v48, 24, v34
	s_delay_alu instid0(VALU_DEP_3) | instskip(SKIP_1) | instid1(VALU_DEP_2)
	v_add_nc_u32_e32 v8, v8, v32
	s_wait_loadcnt 0x0
	v_add_co_u32 v32, vcc_lo, v24, v48
	s_delay_alu instid0(VALU_DEP_2) | instskip(SKIP_1) | instid1(VALU_DEP_1)
	v_add_nc_u32_e32 v8, v8, v33
	s_wait_alu 0xfffd
	v_add_co_ci_u32_e64 v33, null, v25, v8, vcc_lo
	s_and_saveexec_b32 s10, s0
	s_cbranch_execz .LBB1_95
; %bb.94:                               ;   in Loop: Header=BB1_31 Depth=1
	s_wait_alu 0xfffe
	v_mov_b32_e32 v8, s1
	global_store_b128 v[32:33], v[8:11], off offset:8
.LBB1_95:                               ;   in Loop: Header=BB1_31 Depth=1
	s_wait_alu 0xfffe
	s_or_b32 exec_lo, exec_lo, s10
	v_cmp_gt_u64_e32 vcc_lo, 57, v[28:29]
	v_lshlrev_b64_e32 v[34:35], 12, v[34:35]
	v_and_b32_e32 v0, 0xffffff1f, v0
	v_lshl_add_u32 v48, v30, 2, 28
	s_wait_alu 0xfffd
	v_cndmask_b32_e32 v8, 0, v38, vcc_lo
	s_delay_alu instid0(VALU_DEP_4) | instskip(SKIP_2) | instid1(VALU_DEP_3)
	v_add_co_u32 v26, vcc_lo, v26, v34
	s_wait_alu 0xfffd
	v_add_co_ci_u32_e64 v27, null, v27, v35, vcc_lo
	v_or_b32_e32 v0, v0, v8
	s_delay_alu instid0(VALU_DEP_3) | instskip(NEXT) | instid1(VALU_DEP_3)
	v_readfirstlane_b32 s10, v26
	v_readfirstlane_b32 s11, v27
	s_delay_alu instid0(VALU_DEP_3)
	v_and_or_b32 v0, 0x1e0, v48, v0
	s_clause 0x3
	global_store_b128 v36, v[0:3], s[10:11]
	global_store_b128 v36, v[12:15], s[10:11] offset:16
	global_store_b128 v36, v[16:19], s[10:11] offset:32
	global_store_b128 v36, v[20:23], s[10:11] offset:48
	s_and_saveexec_b32 s1, s0
	s_cbranch_execz .LBB1_103
; %bb.96:                               ;   in Loop: Header=BB1_31 Depth=1
	s_clause 0x1
	global_load_b64 v[16:17], v9, s[2:3] offset:32 scope:SCOPE_SYS
	global_load_b64 v[0:1], v9, s[2:3] offset:40
	s_mov_b32 s10, exec_lo
	v_dual_mov_b32 v14, s4 :: v_dual_mov_b32 v15, s5
	s_wait_loadcnt 0x0
	v_and_b32_e32 v0, s4, v0
	v_and_b32_e32 v1, s5, v1
	s_delay_alu instid0(VALU_DEP_2) | instskip(NEXT) | instid1(VALU_DEP_2)
	v_mul_lo_u32 v2, 0, v0
	v_mul_lo_u32 v1, 24, v1
	v_mul_hi_u32 v3, 24, v0
	v_mul_lo_u32 v0, 24, v0
	s_delay_alu instid0(VALU_DEP_3) | instskip(NEXT) | instid1(VALU_DEP_2)
	v_add_nc_u32_e32 v1, v1, v2
	v_add_co_u32 v12, vcc_lo, v24, v0
	s_delay_alu instid0(VALU_DEP_2) | instskip(SKIP_1) | instid1(VALU_DEP_1)
	v_add_nc_u32_e32 v1, v1, v3
	s_wait_alu 0xfffd
	v_add_co_ci_u32_e64 v13, null, v25, v1, vcc_lo
	global_store_b64 v[12:13], v[16:17], off
	global_wb scope:SCOPE_SYS
	s_wait_storecnt 0x0
	global_atomic_cmpswap_b64 v[2:3], v9, v[14:17], s[2:3] offset:32 th:TH_ATOMIC_RETURN scope:SCOPE_SYS
	s_wait_loadcnt 0x0
	v_cmpx_ne_u64_e64 v[2:3], v[16:17]
	s_cbranch_execz .LBB1_99
; %bb.97:                               ;   in Loop: Header=BB1_31 Depth=1
	s_mov_b32 s11, 0
.LBB1_98:                               ;   Parent Loop BB1_31 Depth=1
                                        ; =>  This Inner Loop Header: Depth=2
	v_dual_mov_b32 v0, s4 :: v_dual_mov_b32 v1, s5
	s_sleep 1
	global_store_b64 v[12:13], v[2:3], off
	global_wb scope:SCOPE_SYS
	s_wait_storecnt 0x0
	global_atomic_cmpswap_b64 v[0:1], v9, v[0:3], s[2:3] offset:32 th:TH_ATOMIC_RETURN scope:SCOPE_SYS
	s_wait_loadcnt 0x0
	v_cmp_eq_u64_e32 vcc_lo, v[0:1], v[2:3]
	v_dual_mov_b32 v3, v1 :: v_dual_mov_b32 v2, v0
	s_wait_alu 0xfffe
	s_or_b32 s11, vcc_lo, s11
	s_wait_alu 0xfffe
	s_and_not1_b32 exec_lo, exec_lo, s11
	s_cbranch_execnz .LBB1_98
.LBB1_99:                               ;   in Loop: Header=BB1_31 Depth=1
	s_wait_alu 0xfffe
	s_or_b32 exec_lo, exec_lo, s10
	global_load_b64 v[0:1], v9, s[2:3] offset:16
	s_mov_b32 s11, exec_lo
	s_mov_b32 s10, exec_lo
	s_wait_alu 0xfffe
	v_mbcnt_lo_u32_b32 v2, s11, 0
	s_delay_alu instid0(VALU_DEP_1)
	v_cmpx_eq_u32_e32 0, v2
	s_cbranch_execz .LBB1_101
; %bb.100:                              ;   in Loop: Header=BB1_31 Depth=1
	s_bcnt1_i32_b32 s11, s11
	s_wait_alu 0xfffe
	v_mov_b32_e32 v8, s11
	global_wb scope:SCOPE_SYS
	s_wait_loadcnt 0x0
	s_wait_storecnt 0x0
	global_atomic_add_u64 v[0:1], v[8:9], off offset:8 scope:SCOPE_SYS
.LBB1_101:                              ;   in Loop: Header=BB1_31 Depth=1
	s_or_b32 exec_lo, exec_lo, s10
	s_wait_loadcnt 0x0
	global_load_b64 v[2:3], v[0:1], off offset:16
	s_wait_loadcnt 0x0
	v_cmp_eq_u64_e32 vcc_lo, 0, v[2:3]
	s_cbranch_vccnz .LBB1_103
; %bb.102:                              ;   in Loop: Header=BB1_31 Depth=1
	global_load_b32 v8, v[0:1], off offset:24
	s_wait_loadcnt 0x0
	v_readfirstlane_b32 s10, v8
	global_wb scope:SCOPE_SYS
	s_wait_storecnt 0x0
	global_store_b64 v[2:3], v[8:9], off scope:SCOPE_SYS
	s_and_b32 m0, s10, 0xffffff
	s_sendmsg sendmsg(MSG_INTERRUPT)
.LBB1_103:                              ;   in Loop: Header=BB1_31 Depth=1
	s_wait_alu 0xfffe
	s_or_b32 exec_lo, exec_lo, s1
	v_add_co_u32 v0, vcc_lo, v26, v36
	s_wait_alu 0xfffd
	v_add_co_ci_u32_e64 v1, null, 0, v27, vcc_lo
	s_branch .LBB1_107
.LBB1_104:                              ;   in Loop: Header=BB1_107 Depth=2
	s_wait_alu 0xfffe
	s_or_b32 exec_lo, exec_lo, s1
	s_delay_alu instid0(VALU_DEP_1)
	v_readfirstlane_b32 s1, v2
	s_cmp_eq_u32 s1, 0
	s_cbranch_scc1 .LBB1_106
; %bb.105:                              ;   in Loop: Header=BB1_107 Depth=2
	s_sleep 1
	s_cbranch_execnz .LBB1_107
	s_branch .LBB1_109
.LBB1_106:                              ;   in Loop: Header=BB1_31 Depth=1
	s_branch .LBB1_109
.LBB1_107:                              ;   Parent Loop BB1_31 Depth=1
                                        ; =>  This Inner Loop Header: Depth=2
	v_mov_b32_e32 v2, 1
	s_and_saveexec_b32 s1, s0
	s_cbranch_execz .LBB1_104
; %bb.108:                              ;   in Loop: Header=BB1_107 Depth=2
	global_load_b32 v2, v[32:33], off offset:20 scope:SCOPE_SYS
	s_wait_loadcnt 0x0
	global_inv scope:SCOPE_SYS
	v_and_b32_e32 v2, 1, v2
	s_branch .LBB1_104
.LBB1_109:                              ;   in Loop: Header=BB1_31 Depth=1
	global_load_b64 v[0:1], v[0:1], off
	s_and_saveexec_b32 s10, s0
	s_cbranch_execz .LBB1_30
; %bb.110:                              ;   in Loop: Header=BB1_31 Depth=1
	s_clause 0x2
	global_load_b64 v[2:3], v9, s[2:3] offset:40
	global_load_b64 v[16:17], v9, s[2:3] offset:24 scope:SCOPE_SYS
	global_load_b64 v[12:13], v9, s[2:3]
	s_wait_loadcnt 0x2
	v_readfirstlane_b32 s12, v2
	v_readfirstlane_b32 s13, v3
	s_add_nc_u64 s[0:1], s[12:13], 1
	s_wait_alu 0xfffe
	s_add_nc_u64 s[4:5], s[0:1], s[4:5]
	s_wait_alu 0xfffe
	s_cmp_eq_u64 s[4:5], 0
	s_cselect_b32 s1, s1, s5
	s_cselect_b32 s0, s0, s4
	s_wait_alu 0xfffe
	v_dual_mov_b32 v15, s1 :: v_dual_mov_b32 v14, s0
	s_and_b64 s[4:5], s[0:1], s[12:13]
	s_wait_alu 0xfffe
	s_mul_u64 s[4:5], s[4:5], 24
	s_wait_loadcnt 0x0
	s_wait_alu 0xfffe
	v_add_co_u32 v2, vcc_lo, v12, s4
	s_wait_alu 0xfffd
	v_add_co_ci_u32_e64 v3, null, s5, v13, vcc_lo
	global_store_b64 v[2:3], v[16:17], off
	global_wb scope:SCOPE_SYS
	s_wait_storecnt 0x0
	global_atomic_cmpswap_b64 v[14:15], v9, v[14:17], s[2:3] offset:24 th:TH_ATOMIC_RETURN scope:SCOPE_SYS
	s_wait_loadcnt 0x0
	v_cmp_ne_u64_e32 vcc_lo, v[14:15], v[16:17]
	s_and_b32 exec_lo, exec_lo, vcc_lo
	s_cbranch_execz .LBB1_30
; %bb.111:                              ;   in Loop: Header=BB1_31 Depth=1
	s_mov_b32 s4, 0
.LBB1_112:                              ;   Parent Loop BB1_31 Depth=1
                                        ; =>  This Inner Loop Header: Depth=2
	v_dual_mov_b32 v12, s0 :: v_dual_mov_b32 v13, s1
	s_sleep 1
	global_store_b64 v[2:3], v[14:15], off
	global_wb scope:SCOPE_SYS
	s_wait_storecnt 0x0
	global_atomic_cmpswap_b64 v[12:13], v9, v[12:15], s[2:3] offset:24 th:TH_ATOMIC_RETURN scope:SCOPE_SYS
	s_wait_loadcnt 0x0
	v_cmp_eq_u64_e32 vcc_lo, v[12:13], v[14:15]
	v_dual_mov_b32 v15, v13 :: v_dual_mov_b32 v14, v12
	s_wait_alu 0xfffe
	s_or_b32 s4, vcc_lo, s4
	s_wait_alu 0xfffe
	s_and_not1_b32 exec_lo, exec_lo, s4
	s_cbranch_execnz .LBB1_112
	s_branch .LBB1_30
.LBB1_113:
                                        ; implicit-def: $vgpr0_vgpr1
	s_cbranch_execnz .LBB1_115
	s_branch .LBB1_142
.LBB1_114:
	s_or_b32 exec_lo, exec_lo, s6
	s_branch .LBB1_142
.LBB1_115:
	v_readfirstlane_b32 s0, v37
	v_mov_b32_e32 v9, 0
	v_mov_b32_e32 v10, 0
	s_wait_alu 0xf1ff
	s_delay_alu instid0(VALU_DEP_3)
	v_cmp_eq_u32_e64 s0, s0, v37
	s_and_saveexec_b32 s1, s0
	s_cbranch_execz .LBB1_121
; %bb.116:
	s_wait_loadcnt 0x0
	v_mov_b32_e32 v0, 0
	s_mov_b32 s4, exec_lo
	global_load_b64 v[11:12], v0, s[2:3] offset:24 scope:SCOPE_SYS
	s_wait_loadcnt 0x0
	global_inv scope:SCOPE_SYS
	s_clause 0x1
	global_load_b64 v[1:2], v0, s[2:3] offset:40
	global_load_b64 v[8:9], v0, s[2:3]
	s_wait_loadcnt 0x1
	v_and_b32_e32 v2, v2, v12
	v_and_b32_e32 v1, v1, v11
	s_delay_alu instid0(VALU_DEP_2) | instskip(NEXT) | instid1(VALU_DEP_2)
	v_mul_lo_u32 v2, 24, v2
	v_mul_lo_u32 v3, 0, v1
	v_mul_hi_u32 v10, 24, v1
	v_mul_lo_u32 v1, 24, v1
	s_delay_alu instid0(VALU_DEP_3) | instskip(SKIP_1) | instid1(VALU_DEP_2)
	v_add_nc_u32_e32 v2, v2, v3
	s_wait_loadcnt 0x0
	v_add_co_u32 v1, vcc_lo, v8, v1
	s_delay_alu instid0(VALU_DEP_2) | instskip(SKIP_1) | instid1(VALU_DEP_1)
	v_add_nc_u32_e32 v2, v2, v10
	s_wait_alu 0xfffd
	v_add_co_ci_u32_e64 v2, null, v9, v2, vcc_lo
	global_load_b64 v[9:10], v[1:2], off scope:SCOPE_SYS
	s_wait_loadcnt 0x0
	global_atomic_cmpswap_b64 v[9:10], v0, v[9:12], s[2:3] offset:24 th:TH_ATOMIC_RETURN scope:SCOPE_SYS
	s_wait_loadcnt 0x0
	global_inv scope:SCOPE_SYS
	v_cmpx_ne_u64_e64 v[9:10], v[11:12]
	s_cbranch_execz .LBB1_120
; %bb.117:
	s_mov_b32 s5, 0
.LBB1_118:                              ; =>This Inner Loop Header: Depth=1
	s_sleep 1
	s_clause 0x1
	global_load_b64 v[1:2], v0, s[2:3] offset:40
	global_load_b64 v[13:14], v0, s[2:3]
	v_dual_mov_b32 v12, v10 :: v_dual_mov_b32 v11, v9
	s_wait_loadcnt 0x1
	s_delay_alu instid0(VALU_DEP_1) | instskip(SKIP_1) | instid1(VALU_DEP_1)
	v_and_b32_e32 v1, v1, v11
	s_wait_loadcnt 0x0
	v_mad_co_u64_u32 v[8:9], null, v1, 24, v[13:14]
	s_delay_alu instid0(VALU_DEP_1) | instskip(NEXT) | instid1(VALU_DEP_1)
	v_dual_mov_b32 v1, v9 :: v_dual_and_b32 v2, v2, v12
	v_mad_co_u64_u32 v[1:2], null, v2, 24, v[1:2]
	s_delay_alu instid0(VALU_DEP_1)
	v_mov_b32_e32 v9, v1
	global_load_b64 v[9:10], v[8:9], off scope:SCOPE_SYS
	s_wait_loadcnt 0x0
	global_atomic_cmpswap_b64 v[9:10], v0, v[9:12], s[2:3] offset:24 th:TH_ATOMIC_RETURN scope:SCOPE_SYS
	s_wait_loadcnt 0x0
	global_inv scope:SCOPE_SYS
	v_cmp_eq_u64_e32 vcc_lo, v[9:10], v[11:12]
	s_wait_alu 0xfffe
	s_or_b32 s5, vcc_lo, s5
	s_wait_alu 0xfffe
	s_and_not1_b32 exec_lo, exec_lo, s5
	s_cbranch_execnz .LBB1_118
; %bb.119:
	s_or_b32 exec_lo, exec_lo, s5
.LBB1_120:
	s_wait_alu 0xfffe
	s_or_b32 exec_lo, exec_lo, s4
.LBB1_121:
	s_wait_alu 0xfffe
	s_or_b32 exec_lo, exec_lo, s1
	v_readfirstlane_b32 s5, v10
	v_mov_b32_e32 v8, 0
	v_readfirstlane_b32 s4, v9
	s_mov_b32 s1, exec_lo
	global_load_b64 v[11:12], v8, s[2:3] offset:40
	s_wait_loadcnt 0x1
	global_load_b128 v[0:3], v8, s[2:3]
	s_wait_loadcnt 0x1
	s_wait_alu 0xf1ff
	v_and_b32_e32 v13, s5, v12
	v_and_b32_e32 v12, s4, v11
	s_delay_alu instid0(VALU_DEP_2) | instskip(NEXT) | instid1(VALU_DEP_2)
	v_mul_lo_u32 v9, 24, v13
	v_mul_lo_u32 v10, 0, v12
	v_mul_hi_u32 v11, 24, v12
	v_mul_lo_u32 v14, 24, v12
	s_delay_alu instid0(VALU_DEP_3) | instskip(SKIP_1) | instid1(VALU_DEP_2)
	v_add_nc_u32_e32 v9, v9, v10
	s_wait_loadcnt 0x0
	v_add_co_u32 v10, vcc_lo, v0, v14
	s_delay_alu instid0(VALU_DEP_2) | instskip(SKIP_1) | instid1(VALU_DEP_1)
	v_add_nc_u32_e32 v9, v9, v11
	s_wait_alu 0xfffd
	v_add_co_ci_u32_e64 v11, null, v1, v9, vcc_lo
	s_and_saveexec_b32 s6, s0
	s_cbranch_execz .LBB1_123
; %bb.122:
	s_wait_alu 0xfffe
	v_dual_mov_b32 v14, s1 :: v_dual_mov_b32 v15, v8
	v_dual_mov_b32 v16, 2 :: v_dual_mov_b32 v17, 1
	global_store_b128 v[10:11], v[14:17], off offset:8
.LBB1_123:
	s_wait_alu 0xfffe
	s_or_b32 exec_lo, exec_lo, s6
	v_lshlrev_b64_e32 v[12:13], 12, v[12:13]
	s_mov_b32 s12, 0
	v_and_or_b32 v6, 0xffffff1f, v6, 32
	s_wait_alu 0xfffe
	s_mov_b32 s15, s12
	s_mov_b32 s13, s12
	;; [unrolled: 1-line block ×3, first 2 shown]
	v_add_co_u32 v2, vcc_lo, v2, v12
	s_wait_alu 0xfffd
	v_add_co_ci_u32_e64 v3, null, v3, v13, vcc_lo
	v_mov_b32_e32 v9, v8
	s_delay_alu instid0(VALU_DEP_3) | instskip(SKIP_1) | instid1(VALU_DEP_4)
	v_add_co_u32 v12, vcc_lo, v2, v36
	v_readfirstlane_b32 s6, v2
	v_readfirstlane_b32 s7, v3
	s_wait_alu 0xfffe
	v_dual_mov_b32 v17, s15 :: v_dual_mov_b32 v14, s12
	s_wait_alu 0xfffd
	v_add_co_ci_u32_e64 v13, null, 0, v3, vcc_lo
	v_dual_mov_b32 v16, s14 :: v_dual_mov_b32 v15, s13
	s_clause 0x3
	global_store_b128 v36, v[6:9], s[6:7]
	global_store_b128 v36, v[14:17], s[6:7] offset:16
	global_store_b128 v36, v[14:17], s[6:7] offset:32
	;; [unrolled: 1-line block ×3, first 2 shown]
	s_and_saveexec_b32 s1, s0
	s_cbranch_execz .LBB1_131
; %bb.124:
	v_mov_b32_e32 v8, 0
	s_mov_b32 s6, exec_lo
	s_clause 0x1
	global_load_b64 v[16:17], v8, s[2:3] offset:32 scope:SCOPE_SYS
	global_load_b64 v[2:3], v8, s[2:3] offset:40
	v_dual_mov_b32 v15, s5 :: v_dual_mov_b32 v14, s4
	s_wait_loadcnt 0x0
	v_and_b32_e32 v3, s5, v3
	v_and_b32_e32 v2, s4, v2
	s_delay_alu instid0(VALU_DEP_2) | instskip(NEXT) | instid1(VALU_DEP_2)
	v_mul_lo_u32 v3, 24, v3
	v_mul_lo_u32 v6, 0, v2
	v_mul_hi_u32 v7, 24, v2
	v_mul_lo_u32 v2, 24, v2
	s_delay_alu instid0(VALU_DEP_3) | instskip(NEXT) | instid1(VALU_DEP_2)
	v_add_nc_u32_e32 v3, v3, v6
	v_add_co_u32 v6, vcc_lo, v0, v2
	s_delay_alu instid0(VALU_DEP_2) | instskip(SKIP_1) | instid1(VALU_DEP_1)
	v_add_nc_u32_e32 v3, v3, v7
	s_wait_alu 0xfffd
	v_add_co_ci_u32_e64 v7, null, v1, v3, vcc_lo
	global_store_b64 v[6:7], v[16:17], off
	global_wb scope:SCOPE_SYS
	s_wait_storecnt 0x0
	global_atomic_cmpswap_b64 v[2:3], v8, v[14:17], s[2:3] offset:32 th:TH_ATOMIC_RETURN scope:SCOPE_SYS
	s_wait_loadcnt 0x0
	v_cmpx_ne_u64_e64 v[2:3], v[16:17]
	s_cbranch_execz .LBB1_127
; %bb.125:
	s_mov_b32 s7, 0
.LBB1_126:                              ; =>This Inner Loop Header: Depth=1
	v_dual_mov_b32 v0, s4 :: v_dual_mov_b32 v1, s5
	s_sleep 1
	global_store_b64 v[6:7], v[2:3], off
	global_wb scope:SCOPE_SYS
	s_wait_storecnt 0x0
	global_atomic_cmpswap_b64 v[0:1], v8, v[0:3], s[2:3] offset:32 th:TH_ATOMIC_RETURN scope:SCOPE_SYS
	s_wait_loadcnt 0x0
	v_cmp_eq_u64_e32 vcc_lo, v[0:1], v[2:3]
	v_dual_mov_b32 v3, v1 :: v_dual_mov_b32 v2, v0
	s_wait_alu 0xfffe
	s_or_b32 s7, vcc_lo, s7
	s_wait_alu 0xfffe
	s_and_not1_b32 exec_lo, exec_lo, s7
	s_cbranch_execnz .LBB1_126
.LBB1_127:
	s_wait_alu 0xfffe
	s_or_b32 exec_lo, exec_lo, s6
	v_mov_b32_e32 v3, 0
	s_mov_b32 s7, exec_lo
	s_mov_b32 s6, exec_lo
	s_wait_alu 0xfffe
	v_mbcnt_lo_u32_b32 v2, s7, 0
	global_load_b64 v[0:1], v3, s[2:3] offset:16
	v_cmpx_eq_u32_e32 0, v2
	s_cbranch_execz .LBB1_129
; %bb.128:
	s_bcnt1_i32_b32 s7, s7
	s_wait_alu 0xfffe
	v_mov_b32_e32 v2, s7
	global_wb scope:SCOPE_SYS
	s_wait_loadcnt 0x0
	s_wait_storecnt 0x0
	global_atomic_add_u64 v[0:1], v[2:3], off offset:8 scope:SCOPE_SYS
.LBB1_129:
	s_or_b32 exec_lo, exec_lo, s6
	s_wait_loadcnt 0x0
	global_load_b64 v[2:3], v[0:1], off offset:16
	s_wait_loadcnt 0x0
	v_cmp_eq_u64_e32 vcc_lo, 0, v[2:3]
	s_cbranch_vccnz .LBB1_131
; %bb.130:
	global_load_b32 v0, v[0:1], off offset:24
	v_mov_b32_e32 v1, 0
	s_wait_loadcnt 0x0
	v_readfirstlane_b32 s6, v0
	global_wb scope:SCOPE_SYS
	s_wait_storecnt 0x0
	global_store_b64 v[2:3], v[0:1], off scope:SCOPE_SYS
	s_and_b32 m0, s6, 0xffffff
	s_sendmsg sendmsg(MSG_INTERRUPT)
.LBB1_131:
	s_wait_alu 0xfffe
	s_or_b32 exec_lo, exec_lo, s1
	s_branch .LBB1_135
.LBB1_132:                              ;   in Loop: Header=BB1_135 Depth=1
	s_wait_alu 0xfffe
	s_or_b32 exec_lo, exec_lo, s1
	s_delay_alu instid0(VALU_DEP_1)
	v_readfirstlane_b32 s1, v0
	s_cmp_eq_u32 s1, 0
	s_cbranch_scc1 .LBB1_134
; %bb.133:                              ;   in Loop: Header=BB1_135 Depth=1
	s_sleep 1
	s_cbranch_execnz .LBB1_135
	s_branch .LBB1_137
.LBB1_134:
	s_branch .LBB1_137
.LBB1_135:                              ; =>This Inner Loop Header: Depth=1
	v_mov_b32_e32 v0, 1
	s_and_saveexec_b32 s1, s0
	s_cbranch_execz .LBB1_132
; %bb.136:                              ;   in Loop: Header=BB1_135 Depth=1
	global_load_b32 v0, v[10:11], off offset:20 scope:SCOPE_SYS
	s_wait_loadcnt 0x0
	global_inv scope:SCOPE_SYS
	v_and_b32_e32 v0, 1, v0
	s_branch .LBB1_132
.LBB1_137:
	global_load_b64 v[0:1], v[12:13], off
	s_and_saveexec_b32 s6, s0
	s_cbranch_execz .LBB1_141
; %bb.138:
	v_mov_b32_e32 v10, 0
	s_clause 0x2
	global_load_b64 v[2:3], v10, s[2:3] offset:40
	global_load_b64 v[13:14], v10, s[2:3] offset:24 scope:SCOPE_SYS
	global_load_b64 v[6:7], v10, s[2:3]
	s_wait_loadcnt 0x2
	v_readfirstlane_b32 s10, v2
	v_readfirstlane_b32 s11, v3
	s_add_nc_u64 s[0:1], s[10:11], 1
	s_wait_alu 0xfffe
	s_add_nc_u64 s[4:5], s[0:1], s[4:5]
	s_wait_alu 0xfffe
	s_cmp_eq_u64 s[4:5], 0
	s_cselect_b32 s1, s1, s5
	s_cselect_b32 s0, s0, s4
	s_wait_alu 0xfffe
	v_mov_b32_e32 v12, s1
	s_and_b64 s[4:5], s[0:1], s[10:11]
	v_mov_b32_e32 v11, s0
	s_wait_alu 0xfffe
	s_mul_u64 s[4:5], s[4:5], 24
	s_wait_loadcnt 0x0
	s_wait_alu 0xfffe
	v_add_co_u32 v2, vcc_lo, v6, s4
	s_wait_alu 0xfffd
	v_add_co_ci_u32_e64 v3, null, s5, v7, vcc_lo
	global_store_b64 v[2:3], v[13:14], off
	global_wb scope:SCOPE_SYS
	s_wait_storecnt 0x0
	global_atomic_cmpswap_b64 v[8:9], v10, v[11:14], s[2:3] offset:24 th:TH_ATOMIC_RETURN scope:SCOPE_SYS
	s_wait_loadcnt 0x0
	v_cmp_ne_u64_e32 vcc_lo, v[8:9], v[13:14]
	s_and_b32 exec_lo, exec_lo, vcc_lo
	s_cbranch_execz .LBB1_141
; %bb.139:
	s_mov_b32 s4, 0
.LBB1_140:                              ; =>This Inner Loop Header: Depth=1
	v_dual_mov_b32 v6, s0 :: v_dual_mov_b32 v7, s1
	s_sleep 1
	global_store_b64 v[2:3], v[8:9], off
	global_wb scope:SCOPE_SYS
	s_wait_storecnt 0x0
	global_atomic_cmpswap_b64 v[6:7], v10, v[6:9], s[2:3] offset:24 th:TH_ATOMIC_RETURN scope:SCOPE_SYS
	s_wait_loadcnt 0x0
	v_cmp_eq_u64_e32 vcc_lo, v[6:7], v[8:9]
	v_dual_mov_b32 v9, v7 :: v_dual_mov_b32 v8, v6
	s_wait_alu 0xfffe
	s_or_b32 s4, vcc_lo, s4
	s_wait_alu 0xfffe
	s_and_not1_b32 exec_lo, exec_lo, s4
	s_cbranch_execnz .LBB1_140
.LBB1_141:
	s_wait_alu 0xfffe
	s_or_b32 exec_lo, exec_lo, s6
.LBB1_142:
	s_getpc_b64 s[4:5]
	s_wait_alu 0xfffe
	s_sext_i32_i16 s5, s5
	s_add_co_u32 s4, s4, .str.4@rel32@lo+12
	s_wait_alu 0xfffe
	s_add_co_ci_u32 s5, s5, .str.4@rel32@hi+24
	s_wait_alu 0xfffe
	s_cmp_lg_u64 s[4:5], 0
	s_cbranch_scc0 .LBB1_220
; %bb.143:
	s_getpc_b64 s[0:1]
	s_wait_alu 0xfffe
	s_sext_i32_i16 s1, s1
	s_add_co_u32 s0, s0, .str.4@rel32@lo+88
	s_wait_alu 0xfffe
	s_add_co_ci_u32 s1, s1, .str.4@rel32@hi+100
	s_wait_loadcnt 0x0
	v_dual_mov_b32 v11, 0 :: v_dual_and_b32 v32, 2, v0
	v_dual_mov_b32 v7, v1 :: v_dual_and_b32 v6, -3, v0
	v_dual_mov_b32 v12, 2 :: v_dual_mov_b32 v13, 1
	s_sub_co_i32 s6, s0, s4
	s_wait_alu 0xfffe
	s_ashr_i32 s7, s6, 31
	s_branch .LBB1_145
.LBB1_144:                              ;   in Loop: Header=BB1_145 Depth=1
	s_wait_alu 0xfffe
	s_or_b32 exec_lo, exec_lo, s14
	s_sub_nc_u64 s[6:7], s[6:7], s[10:11]
	s_add_nc_u64 s[4:5], s[4:5], s[10:11]
	s_wait_alu 0xfffe
	s_cmp_lg_u64 s[6:7], 0
	s_cbranch_scc0 .LBB1_221
.LBB1_145:                              ; =>This Loop Header: Depth=1
                                        ;     Child Loop BB1_148 Depth 2
                                        ;     Child Loop BB1_155 Depth 2
	;; [unrolled: 1-line block ×11, first 2 shown]
	s_wait_alu 0xfffe
	v_cmp_lt_u64_e64 s0, s[6:7], 56
	v_cmp_gt_u64_e64 s1, s[6:7], 7
	s_and_b32 s0, s0, exec_lo
	s_cselect_b32 s11, s7, 0
	s_cselect_b32 s10, s6, 56
	s_and_b32 vcc_lo, exec_lo, s1
	s_wait_alu 0xfffe
	s_cbranch_vccnz .LBB1_150
; %bb.146:                              ;   in Loop: Header=BB1_145 Depth=1
	v_mov_b32_e32 v8, 0
	v_mov_b32_e32 v9, 0
	s_cmp_eq_u64 s[6:7], 0
	s_cbranch_scc1 .LBB1_149
; %bb.147:                              ;   in Loop: Header=BB1_145 Depth=1
	s_mov_b64 s[0:1], 0
	s_mov_b64 s[12:13], 0
.LBB1_148:                              ;   Parent Loop BB1_145 Depth=1
                                        ; =>  This Inner Loop Header: Depth=2
	s_wait_alu 0xfffe
	s_add_nc_u64 s[14:15], s[4:5], s[12:13]
	s_add_nc_u64 s[12:13], s[12:13], 1
	global_load_u8 v2, v11, s[14:15]
	s_wait_alu 0xfffe
	s_cmp_lg_u32 s10, s12
	s_wait_loadcnt 0x0
	v_and_b32_e32 v10, 0xffff, v2
	s_delay_alu instid0(VALU_DEP_1) | instskip(SKIP_1) | instid1(VALU_DEP_1)
	v_lshlrev_b64_e32 v[2:3], s0, v[10:11]
	s_add_nc_u64 s[0:1], s[0:1], 8
	v_or_b32_e32 v8, v2, v8
	s_delay_alu instid0(VALU_DEP_2)
	v_or_b32_e32 v9, v3, v9
	s_cbranch_scc1 .LBB1_148
.LBB1_149:                              ;   in Loop: Header=BB1_145 Depth=1
	s_mov_b64 s[12:13], s[4:5]
	s_mov_b32 s16, 0
	s_cbranch_execz .LBB1_151
	s_branch .LBB1_152
.LBB1_150:                              ;   in Loop: Header=BB1_145 Depth=1
	s_add_nc_u64 s[12:13], s[4:5], 8
	s_mov_b32 s16, 0
.LBB1_151:                              ;   in Loop: Header=BB1_145 Depth=1
	global_load_b64 v[8:9], v11, s[4:5]
	s_add_co_i32 s16, s10, -8
.LBB1_152:                              ;   in Loop: Header=BB1_145 Depth=1
	s_wait_alu 0xfffe
	s_cmp_gt_u32 s16, 7
	s_cbranch_scc1 .LBB1_157
; %bb.153:                              ;   in Loop: Header=BB1_145 Depth=1
	v_mov_b32_e32 v14, 0
	v_mov_b32_e32 v15, 0
	s_cmp_eq_u32 s16, 0
	s_cbranch_scc1 .LBB1_156
; %bb.154:                              ;   in Loop: Header=BB1_145 Depth=1
	s_mov_b64 s[0:1], 0
	s_mov_b64 s[14:15], 0
.LBB1_155:                              ;   Parent Loop BB1_145 Depth=1
                                        ; =>  This Inner Loop Header: Depth=2
	s_wait_alu 0xfffe
	s_add_nc_u64 s[18:19], s[12:13], s[14:15]
	s_add_nc_u64 s[14:15], s[14:15], 1
	global_load_u8 v2, v11, s[18:19]
	s_wait_alu 0xfffe
	s_cmp_lg_u32 s16, s14
	s_wait_loadcnt 0x0
	v_and_b32_e32 v10, 0xffff, v2
	s_delay_alu instid0(VALU_DEP_1) | instskip(SKIP_1) | instid1(VALU_DEP_1)
	v_lshlrev_b64_e32 v[2:3], s0, v[10:11]
	s_add_nc_u64 s[0:1], s[0:1], 8
	v_or_b32_e32 v14, v2, v14
	s_delay_alu instid0(VALU_DEP_2)
	v_or_b32_e32 v15, v3, v15
	s_cbranch_scc1 .LBB1_155
.LBB1_156:                              ;   in Loop: Header=BB1_145 Depth=1
	s_mov_b64 s[0:1], s[12:13]
	s_mov_b32 s17, 0
	s_cbranch_execz .LBB1_158
	s_branch .LBB1_159
.LBB1_157:                              ;   in Loop: Header=BB1_145 Depth=1
	s_add_nc_u64 s[0:1], s[12:13], 8
                                        ; implicit-def: $vgpr14_vgpr15
	s_mov_b32 s17, 0
.LBB1_158:                              ;   in Loop: Header=BB1_145 Depth=1
	global_load_b64 v[14:15], v11, s[12:13]
	s_add_co_i32 s17, s16, -8
.LBB1_159:                              ;   in Loop: Header=BB1_145 Depth=1
	s_wait_alu 0xfffe
	s_cmp_gt_u32 s17, 7
	s_cbranch_scc1 .LBB1_164
; %bb.160:                              ;   in Loop: Header=BB1_145 Depth=1
	v_mov_b32_e32 v16, 0
	v_mov_b32_e32 v17, 0
	s_cmp_eq_u32 s17, 0
	s_cbranch_scc1 .LBB1_163
; %bb.161:                              ;   in Loop: Header=BB1_145 Depth=1
	s_mov_b64 s[12:13], 0
	s_mov_b64 s[14:15], 0
.LBB1_162:                              ;   Parent Loop BB1_145 Depth=1
                                        ; =>  This Inner Loop Header: Depth=2
	s_wait_alu 0xfffe
	s_add_nc_u64 s[18:19], s[0:1], s[14:15]
	s_add_nc_u64 s[14:15], s[14:15], 1
	global_load_u8 v2, v11, s[18:19]
	s_wait_alu 0xfffe
	s_cmp_lg_u32 s17, s14
	s_wait_loadcnt 0x0
	v_and_b32_e32 v10, 0xffff, v2
	s_delay_alu instid0(VALU_DEP_1) | instskip(SKIP_1) | instid1(VALU_DEP_1)
	v_lshlrev_b64_e32 v[2:3], s12, v[10:11]
	s_add_nc_u64 s[12:13], s[12:13], 8
	v_or_b32_e32 v16, v2, v16
	s_delay_alu instid0(VALU_DEP_2)
	v_or_b32_e32 v17, v3, v17
	s_cbranch_scc1 .LBB1_162
.LBB1_163:                              ;   in Loop: Header=BB1_145 Depth=1
	s_mov_b64 s[12:13], s[0:1]
	s_mov_b32 s16, 0
	s_cbranch_execz .LBB1_165
	s_branch .LBB1_166
.LBB1_164:                              ;   in Loop: Header=BB1_145 Depth=1
	s_add_nc_u64 s[12:13], s[0:1], 8
	s_mov_b32 s16, 0
.LBB1_165:                              ;   in Loop: Header=BB1_145 Depth=1
	global_load_b64 v[16:17], v11, s[0:1]
	s_add_co_i32 s16, s17, -8
.LBB1_166:                              ;   in Loop: Header=BB1_145 Depth=1
	s_wait_alu 0xfffe
	s_cmp_gt_u32 s16, 7
	s_cbranch_scc1 .LBB1_171
; %bb.167:                              ;   in Loop: Header=BB1_145 Depth=1
	v_mov_b32_e32 v18, 0
	v_mov_b32_e32 v19, 0
	s_cmp_eq_u32 s16, 0
	s_cbranch_scc1 .LBB1_170
; %bb.168:                              ;   in Loop: Header=BB1_145 Depth=1
	s_mov_b64 s[0:1], 0
	s_mov_b64 s[14:15], 0
.LBB1_169:                              ;   Parent Loop BB1_145 Depth=1
                                        ; =>  This Inner Loop Header: Depth=2
	s_wait_alu 0xfffe
	s_add_nc_u64 s[18:19], s[12:13], s[14:15]
	s_add_nc_u64 s[14:15], s[14:15], 1
	global_load_u8 v2, v11, s[18:19]
	s_wait_alu 0xfffe
	s_cmp_lg_u32 s16, s14
	s_wait_loadcnt 0x0
	v_and_b32_e32 v10, 0xffff, v2
	s_delay_alu instid0(VALU_DEP_1) | instskip(SKIP_1) | instid1(VALU_DEP_1)
	v_lshlrev_b64_e32 v[2:3], s0, v[10:11]
	s_add_nc_u64 s[0:1], s[0:1], 8
	v_or_b32_e32 v18, v2, v18
	s_delay_alu instid0(VALU_DEP_2)
	v_or_b32_e32 v19, v3, v19
	s_cbranch_scc1 .LBB1_169
.LBB1_170:                              ;   in Loop: Header=BB1_145 Depth=1
	s_mov_b64 s[0:1], s[12:13]
	s_mov_b32 s17, 0
	s_cbranch_execz .LBB1_172
	s_branch .LBB1_173
.LBB1_171:                              ;   in Loop: Header=BB1_145 Depth=1
	s_add_nc_u64 s[0:1], s[12:13], 8
                                        ; implicit-def: $vgpr18_vgpr19
	s_mov_b32 s17, 0
.LBB1_172:                              ;   in Loop: Header=BB1_145 Depth=1
	global_load_b64 v[18:19], v11, s[12:13]
	s_add_co_i32 s17, s16, -8
.LBB1_173:                              ;   in Loop: Header=BB1_145 Depth=1
	s_wait_alu 0xfffe
	s_cmp_gt_u32 s17, 7
	s_cbranch_scc1 .LBB1_178
; %bb.174:                              ;   in Loop: Header=BB1_145 Depth=1
	v_mov_b32_e32 v20, 0
	v_mov_b32_e32 v21, 0
	s_cmp_eq_u32 s17, 0
	s_cbranch_scc1 .LBB1_177
; %bb.175:                              ;   in Loop: Header=BB1_145 Depth=1
	s_mov_b64 s[12:13], 0
	s_mov_b64 s[14:15], 0
.LBB1_176:                              ;   Parent Loop BB1_145 Depth=1
                                        ; =>  This Inner Loop Header: Depth=2
	s_wait_alu 0xfffe
	s_add_nc_u64 s[18:19], s[0:1], s[14:15]
	s_add_nc_u64 s[14:15], s[14:15], 1
	global_load_u8 v2, v11, s[18:19]
	s_wait_alu 0xfffe
	s_cmp_lg_u32 s17, s14
	s_wait_loadcnt 0x0
	v_and_b32_e32 v10, 0xffff, v2
	s_delay_alu instid0(VALU_DEP_1) | instskip(SKIP_1) | instid1(VALU_DEP_1)
	v_lshlrev_b64_e32 v[2:3], s12, v[10:11]
	s_add_nc_u64 s[12:13], s[12:13], 8
	v_or_b32_e32 v20, v2, v20
	s_delay_alu instid0(VALU_DEP_2)
	v_or_b32_e32 v21, v3, v21
	s_cbranch_scc1 .LBB1_176
.LBB1_177:                              ;   in Loop: Header=BB1_145 Depth=1
	s_mov_b64 s[12:13], s[0:1]
	s_mov_b32 s16, 0
	s_cbranch_execz .LBB1_179
	s_branch .LBB1_180
.LBB1_178:                              ;   in Loop: Header=BB1_145 Depth=1
	s_add_nc_u64 s[12:13], s[0:1], 8
	s_mov_b32 s16, 0
.LBB1_179:                              ;   in Loop: Header=BB1_145 Depth=1
	global_load_b64 v[20:21], v11, s[0:1]
	s_add_co_i32 s16, s17, -8
.LBB1_180:                              ;   in Loop: Header=BB1_145 Depth=1
	s_wait_alu 0xfffe
	s_cmp_gt_u32 s16, 7
	s_cbranch_scc1 .LBB1_185
; %bb.181:                              ;   in Loop: Header=BB1_145 Depth=1
	v_mov_b32_e32 v22, 0
	v_mov_b32_e32 v23, 0
	s_cmp_eq_u32 s16, 0
	s_cbranch_scc1 .LBB1_184
; %bb.182:                              ;   in Loop: Header=BB1_145 Depth=1
	s_mov_b64 s[0:1], 0
	s_mov_b64 s[14:15], 0
.LBB1_183:                              ;   Parent Loop BB1_145 Depth=1
                                        ; =>  This Inner Loop Header: Depth=2
	s_wait_alu 0xfffe
	s_add_nc_u64 s[18:19], s[12:13], s[14:15]
	s_add_nc_u64 s[14:15], s[14:15], 1
	global_load_u8 v2, v11, s[18:19]
	s_wait_alu 0xfffe
	s_cmp_lg_u32 s16, s14
	s_wait_loadcnt 0x0
	v_and_b32_e32 v10, 0xffff, v2
	s_delay_alu instid0(VALU_DEP_1) | instskip(SKIP_1) | instid1(VALU_DEP_1)
	v_lshlrev_b64_e32 v[2:3], s0, v[10:11]
	s_add_nc_u64 s[0:1], s[0:1], 8
	v_or_b32_e32 v22, v2, v22
	s_delay_alu instid0(VALU_DEP_2)
	v_or_b32_e32 v23, v3, v23
	s_cbranch_scc1 .LBB1_183
.LBB1_184:                              ;   in Loop: Header=BB1_145 Depth=1
	s_mov_b64 s[0:1], s[12:13]
	s_mov_b32 s17, 0
	s_cbranch_execz .LBB1_186
	s_branch .LBB1_187
.LBB1_185:                              ;   in Loop: Header=BB1_145 Depth=1
	s_add_nc_u64 s[0:1], s[12:13], 8
                                        ; implicit-def: $vgpr22_vgpr23
	s_mov_b32 s17, 0
.LBB1_186:                              ;   in Loop: Header=BB1_145 Depth=1
	global_load_b64 v[22:23], v11, s[12:13]
	s_add_co_i32 s17, s16, -8
.LBB1_187:                              ;   in Loop: Header=BB1_145 Depth=1
	s_wait_alu 0xfffe
	s_cmp_gt_u32 s17, 7
	s_cbranch_scc1 .LBB1_192
; %bb.188:                              ;   in Loop: Header=BB1_145 Depth=1
	v_mov_b32_e32 v24, 0
	v_mov_b32_e32 v25, 0
	s_cmp_eq_u32 s17, 0
	s_cbranch_scc1 .LBB1_191
; %bb.189:                              ;   in Loop: Header=BB1_145 Depth=1
	s_mov_b64 s[12:13], 0
	s_mov_b64 s[14:15], s[0:1]
.LBB1_190:                              ;   Parent Loop BB1_145 Depth=1
                                        ; =>  This Inner Loop Header: Depth=2
	global_load_u8 v2, v11, s[14:15]
	s_add_co_i32 s17, s17, -1
	s_wait_alu 0xfffe
	s_add_nc_u64 s[14:15], s[14:15], 1
	s_cmp_lg_u32 s17, 0
	s_wait_loadcnt 0x0
	v_and_b32_e32 v10, 0xffff, v2
	s_delay_alu instid0(VALU_DEP_1) | instskip(SKIP_1) | instid1(VALU_DEP_1)
	v_lshlrev_b64_e32 v[2:3], s12, v[10:11]
	s_add_nc_u64 s[12:13], s[12:13], 8
	v_or_b32_e32 v24, v2, v24
	s_delay_alu instid0(VALU_DEP_2)
	v_or_b32_e32 v25, v3, v25
	s_cbranch_scc1 .LBB1_190
.LBB1_191:                              ;   in Loop: Header=BB1_145 Depth=1
	s_cbranch_execz .LBB1_193
	s_branch .LBB1_194
.LBB1_192:                              ;   in Loop: Header=BB1_145 Depth=1
.LBB1_193:                              ;   in Loop: Header=BB1_145 Depth=1
	global_load_b64 v[24:25], v11, s[0:1]
.LBB1_194:                              ;   in Loop: Header=BB1_145 Depth=1
	v_readfirstlane_b32 s0, v37
	v_mov_b32_e32 v2, 0
	v_mov_b32_e32 v3, 0
	s_wait_alu 0xf1ff
	s_delay_alu instid0(VALU_DEP_3)
	v_cmp_eq_u32_e64 s0, s0, v37
	s_and_saveexec_b32 s1, s0
	s_cbranch_execz .LBB1_200
; %bb.195:                              ;   in Loop: Header=BB1_145 Depth=1
	global_load_b64 v[28:29], v11, s[2:3] offset:24 scope:SCOPE_SYS
	s_wait_loadcnt 0x0
	global_inv scope:SCOPE_SYS
	s_clause 0x1
	global_load_b64 v[2:3], v11, s[2:3] offset:40
	global_load_b64 v[26:27], v11, s[2:3]
	s_mov_b32 s12, exec_lo
	s_wait_loadcnt 0x1
	v_and_b32_e32 v3, v3, v29
	v_and_b32_e32 v2, v2, v28
	s_delay_alu instid0(VALU_DEP_2) | instskip(NEXT) | instid1(VALU_DEP_2)
	v_mul_lo_u32 v3, 24, v3
	v_mul_lo_u32 v10, 0, v2
	v_mul_hi_u32 v30, 24, v2
	v_mul_lo_u32 v2, 24, v2
	s_delay_alu instid0(VALU_DEP_3) | instskip(SKIP_1) | instid1(VALU_DEP_2)
	v_add_nc_u32_e32 v3, v3, v10
	s_wait_loadcnt 0x0
	v_add_co_u32 v2, vcc_lo, v26, v2
	s_delay_alu instid0(VALU_DEP_2) | instskip(SKIP_1) | instid1(VALU_DEP_1)
	v_add_nc_u32_e32 v3, v3, v30
	s_wait_alu 0xfffd
	v_add_co_ci_u32_e64 v3, null, v27, v3, vcc_lo
	global_load_b64 v[26:27], v[2:3], off scope:SCOPE_SYS
	s_wait_loadcnt 0x0
	global_atomic_cmpswap_b64 v[2:3], v11, v[26:29], s[2:3] offset:24 th:TH_ATOMIC_RETURN scope:SCOPE_SYS
	s_wait_loadcnt 0x0
	global_inv scope:SCOPE_SYS
	v_cmpx_ne_u64_e64 v[2:3], v[28:29]
	s_cbranch_execz .LBB1_199
; %bb.196:                              ;   in Loop: Header=BB1_145 Depth=1
	s_mov_b32 s13, 0
.LBB1_197:                              ;   Parent Loop BB1_145 Depth=1
                                        ; =>  This Inner Loop Header: Depth=2
	s_sleep 1
	s_clause 0x1
	global_load_b64 v[26:27], v11, s[2:3] offset:40
	global_load_b64 v[30:31], v11, s[2:3]
	v_dual_mov_b32 v29, v3 :: v_dual_mov_b32 v28, v2
	s_wait_loadcnt 0x1
	s_delay_alu instid0(VALU_DEP_1) | instskip(NEXT) | instid1(VALU_DEP_2)
	v_and_b32_e32 v2, v26, v28
	v_and_b32_e32 v10, v27, v29
	s_wait_loadcnt 0x0
	s_delay_alu instid0(VALU_DEP_2) | instskip(NEXT) | instid1(VALU_DEP_1)
	v_mad_co_u64_u32 v[2:3], null, v2, 24, v[30:31]
	v_mad_co_u64_u32 v[26:27], null, v10, 24, v[3:4]
	s_delay_alu instid0(VALU_DEP_1)
	v_mov_b32_e32 v3, v26
	global_load_b64 v[26:27], v[2:3], off scope:SCOPE_SYS
	s_wait_loadcnt 0x0
	global_atomic_cmpswap_b64 v[2:3], v11, v[26:29], s[2:3] offset:24 th:TH_ATOMIC_RETURN scope:SCOPE_SYS
	s_wait_loadcnt 0x0
	global_inv scope:SCOPE_SYS
	v_cmp_eq_u64_e32 vcc_lo, v[2:3], v[28:29]
	s_wait_alu 0xfffe
	s_or_b32 s13, vcc_lo, s13
	s_wait_alu 0xfffe
	s_and_not1_b32 exec_lo, exec_lo, s13
	s_cbranch_execnz .LBB1_197
; %bb.198:                              ;   in Loop: Header=BB1_145 Depth=1
	s_or_b32 exec_lo, exec_lo, s13
.LBB1_199:                              ;   in Loop: Header=BB1_145 Depth=1
	s_wait_alu 0xfffe
	s_or_b32 exec_lo, exec_lo, s12
.LBB1_200:                              ;   in Loop: Header=BB1_145 Depth=1
	s_wait_alu 0xfffe
	s_or_b32 exec_lo, exec_lo, s1
	s_clause 0x1
	global_load_b64 v[30:31], v11, s[2:3] offset:40
	global_load_b128 v[26:29], v11, s[2:3]
	v_readfirstlane_b32 s13, v3
	v_readfirstlane_b32 s12, v2
	s_mov_b32 s1, exec_lo
	s_wait_loadcnt 0x1
	s_wait_alu 0xf1ff
	v_and_b32_e32 v31, s13, v31
	v_and_b32_e32 v30, s12, v30
	s_delay_alu instid0(VALU_DEP_2) | instskip(NEXT) | instid1(VALU_DEP_2)
	v_mul_lo_u32 v2, 24, v31
	v_mul_lo_u32 v3, 0, v30
	v_mul_hi_u32 v10, 24, v30
	v_mul_lo_u32 v33, 24, v30
	s_delay_alu instid0(VALU_DEP_3) | instskip(NEXT) | instid1(VALU_DEP_1)
	v_add_nc_u32_e32 v2, v2, v3
	v_add_nc_u32_e32 v3, v2, v10
	s_wait_loadcnt 0x0
	s_delay_alu instid0(VALU_DEP_3) | instskip(SKIP_1) | instid1(VALU_DEP_2)
	v_add_co_u32 v2, vcc_lo, v26, v33
	s_wait_alu 0xfffd
	v_add_co_ci_u32_e64 v3, null, v27, v3, vcc_lo
	s_and_saveexec_b32 s14, s0
	s_cbranch_execz .LBB1_202
; %bb.201:                              ;   in Loop: Header=BB1_145 Depth=1
	s_wait_alu 0xfffe
	v_mov_b32_e32 v10, s1
	global_store_b128 v[2:3], v[10:13], off offset:8
.LBB1_202:                              ;   in Loop: Header=BB1_145 Depth=1
	s_wait_alu 0xfffe
	s_or_b32 exec_lo, exec_lo, s14
	v_cmp_lt_u64_e64 vcc_lo, s[6:7], 57
	v_lshlrev_b64_e32 v[30:31], 12, v[30:31]
	v_and_b32_e32 v6, 0xffffff1f, v6
	s_lshl_b32 s1, s10, 2
	s_wait_alu 0xfffe
	s_add_co_i32 s1, s1, 28
	s_wait_alu 0xfffd
	v_cndmask_b32_e32 v10, 0, v32, vcc_lo
	v_add_co_u32 v28, vcc_lo, v28, v30
	s_wait_alu 0xfffd
	v_add_co_ci_u32_e64 v29, null, v29, v31, vcc_lo
	s_delay_alu instid0(VALU_DEP_3) | instskip(NEXT) | instid1(VALU_DEP_3)
	v_or_b32_e32 v6, v6, v10
	v_readfirstlane_b32 s14, v28
	s_delay_alu instid0(VALU_DEP_3) | instskip(SKIP_1) | instid1(VALU_DEP_3)
	v_readfirstlane_b32 s15, v29
	s_wait_alu 0xfffe
	v_and_or_b32 v6, 0x1e0, s1, v6
	s_clause 0x3
	global_store_b128 v36, v[6:9], s[14:15]
	global_store_b128 v36, v[14:17], s[14:15] offset:16
	global_store_b128 v36, v[18:21], s[14:15] offset:32
	;; [unrolled: 1-line block ×3, first 2 shown]
	s_and_saveexec_b32 s1, s0
	s_cbranch_execz .LBB1_210
; %bb.203:                              ;   in Loop: Header=BB1_145 Depth=1
	s_clause 0x1
	global_load_b64 v[18:19], v11, s[2:3] offset:32 scope:SCOPE_SYS
	global_load_b64 v[6:7], v11, s[2:3] offset:40
	s_mov_b32 s14, exec_lo
	v_dual_mov_b32 v16, s12 :: v_dual_mov_b32 v17, s13
	s_wait_loadcnt 0x0
	v_and_b32_e32 v6, s12, v6
	v_and_b32_e32 v7, s13, v7
	s_delay_alu instid0(VALU_DEP_2) | instskip(NEXT) | instid1(VALU_DEP_2)
	v_mul_lo_u32 v8, 0, v6
	v_mul_lo_u32 v7, 24, v7
	v_mul_hi_u32 v9, 24, v6
	v_mul_lo_u32 v6, 24, v6
	s_delay_alu instid0(VALU_DEP_3) | instskip(NEXT) | instid1(VALU_DEP_2)
	v_add_nc_u32_e32 v7, v7, v8
	v_add_co_u32 v14, vcc_lo, v26, v6
	s_delay_alu instid0(VALU_DEP_2) | instskip(SKIP_1) | instid1(VALU_DEP_1)
	v_add_nc_u32_e32 v7, v7, v9
	s_wait_alu 0xfffd
	v_add_co_ci_u32_e64 v15, null, v27, v7, vcc_lo
	global_store_b64 v[14:15], v[18:19], off
	global_wb scope:SCOPE_SYS
	s_wait_storecnt 0x0
	global_atomic_cmpswap_b64 v[8:9], v11, v[16:19], s[2:3] offset:32 th:TH_ATOMIC_RETURN scope:SCOPE_SYS
	s_wait_loadcnt 0x0
	v_cmpx_ne_u64_e64 v[8:9], v[18:19]
	s_cbranch_execz .LBB1_206
; %bb.204:                              ;   in Loop: Header=BB1_145 Depth=1
	s_mov_b32 s15, 0
.LBB1_205:                              ;   Parent Loop BB1_145 Depth=1
                                        ; =>  This Inner Loop Header: Depth=2
	v_dual_mov_b32 v6, s12 :: v_dual_mov_b32 v7, s13
	s_sleep 1
	global_store_b64 v[14:15], v[8:9], off
	global_wb scope:SCOPE_SYS
	s_wait_storecnt 0x0
	global_atomic_cmpswap_b64 v[6:7], v11, v[6:9], s[2:3] offset:32 th:TH_ATOMIC_RETURN scope:SCOPE_SYS
	s_wait_loadcnt 0x0
	v_cmp_eq_u64_e32 vcc_lo, v[6:7], v[8:9]
	v_dual_mov_b32 v9, v7 :: v_dual_mov_b32 v8, v6
	s_wait_alu 0xfffe
	s_or_b32 s15, vcc_lo, s15
	s_wait_alu 0xfffe
	s_and_not1_b32 exec_lo, exec_lo, s15
	s_cbranch_execnz .LBB1_205
.LBB1_206:                              ;   in Loop: Header=BB1_145 Depth=1
	s_wait_alu 0xfffe
	s_or_b32 exec_lo, exec_lo, s14
	global_load_b64 v[6:7], v11, s[2:3] offset:16
	s_mov_b32 s15, exec_lo
	s_mov_b32 s14, exec_lo
	s_wait_alu 0xfffe
	v_mbcnt_lo_u32_b32 v8, s15, 0
	s_delay_alu instid0(VALU_DEP_1)
	v_cmpx_eq_u32_e32 0, v8
	s_cbranch_execz .LBB1_208
; %bb.207:                              ;   in Loop: Header=BB1_145 Depth=1
	s_bcnt1_i32_b32 s15, s15
	s_wait_alu 0xfffe
	v_mov_b32_e32 v10, s15
	global_wb scope:SCOPE_SYS
	s_wait_loadcnt 0x0
	s_wait_storecnt 0x0
	global_atomic_add_u64 v[6:7], v[10:11], off offset:8 scope:SCOPE_SYS
.LBB1_208:                              ;   in Loop: Header=BB1_145 Depth=1
	s_or_b32 exec_lo, exec_lo, s14
	s_wait_loadcnt 0x0
	global_load_b64 v[8:9], v[6:7], off offset:16
	s_wait_loadcnt 0x0
	v_cmp_eq_u64_e32 vcc_lo, 0, v[8:9]
	s_cbranch_vccnz .LBB1_210
; %bb.209:                              ;   in Loop: Header=BB1_145 Depth=1
	global_load_b32 v10, v[6:7], off offset:24
	s_wait_loadcnt 0x0
	v_readfirstlane_b32 s14, v10
	global_wb scope:SCOPE_SYS
	s_wait_storecnt 0x0
	global_store_b64 v[8:9], v[10:11], off scope:SCOPE_SYS
	s_and_b32 m0, s14, 0xffffff
	s_sendmsg sendmsg(MSG_INTERRUPT)
.LBB1_210:                              ;   in Loop: Header=BB1_145 Depth=1
	s_wait_alu 0xfffe
	s_or_b32 exec_lo, exec_lo, s1
	v_add_co_u32 v6, vcc_lo, v28, v36
	s_wait_alu 0xfffd
	v_add_co_ci_u32_e64 v7, null, 0, v29, vcc_lo
	s_branch .LBB1_214
.LBB1_211:                              ;   in Loop: Header=BB1_214 Depth=2
	s_wait_alu 0xfffe
	s_or_b32 exec_lo, exec_lo, s1
	s_delay_alu instid0(VALU_DEP_1)
	v_readfirstlane_b32 s1, v8
	s_cmp_eq_u32 s1, 0
	s_cbranch_scc1 .LBB1_213
; %bb.212:                              ;   in Loop: Header=BB1_214 Depth=2
	s_sleep 1
	s_cbranch_execnz .LBB1_214
	s_branch .LBB1_216
.LBB1_213:                              ;   in Loop: Header=BB1_145 Depth=1
	s_branch .LBB1_216
.LBB1_214:                              ;   Parent Loop BB1_145 Depth=1
                                        ; =>  This Inner Loop Header: Depth=2
	v_mov_b32_e32 v8, 1
	s_and_saveexec_b32 s1, s0
	s_cbranch_execz .LBB1_211
; %bb.215:                              ;   in Loop: Header=BB1_214 Depth=2
	global_load_b32 v8, v[2:3], off offset:20 scope:SCOPE_SYS
	s_wait_loadcnt 0x0
	global_inv scope:SCOPE_SYS
	v_and_b32_e32 v8, 1, v8
	s_branch .LBB1_211
.LBB1_216:                              ;   in Loop: Header=BB1_145 Depth=1
	global_load_b64 v[6:7], v[6:7], off
	s_and_saveexec_b32 s14, s0
	s_cbranch_execz .LBB1_144
; %bb.217:                              ;   in Loop: Header=BB1_145 Depth=1
	s_clause 0x2
	global_load_b64 v[2:3], v11, s[2:3] offset:40
	global_load_b64 v[18:19], v11, s[2:3] offset:24 scope:SCOPE_SYS
	global_load_b64 v[8:9], v11, s[2:3]
	s_wait_loadcnt 0x2
	v_readfirstlane_b32 s16, v2
	v_readfirstlane_b32 s17, v3
	s_add_nc_u64 s[0:1], s[16:17], 1
	s_wait_alu 0xfffe
	s_add_nc_u64 s[12:13], s[0:1], s[12:13]
	s_wait_alu 0xfffe
	s_cmp_eq_u64 s[12:13], 0
	s_cselect_b32 s1, s1, s13
	s_cselect_b32 s0, s0, s12
	s_wait_alu 0xfffe
	v_dual_mov_b32 v17, s1 :: v_dual_mov_b32 v16, s0
	s_and_b64 s[12:13], s[0:1], s[16:17]
	s_wait_alu 0xfffe
	s_mul_u64 s[12:13], s[12:13], 24
	s_wait_loadcnt 0x0
	s_wait_alu 0xfffe
	v_add_co_u32 v2, vcc_lo, v8, s12
	s_wait_alu 0xfffd
	v_add_co_ci_u32_e64 v3, null, s13, v9, vcc_lo
	global_store_b64 v[2:3], v[18:19], off
	global_wb scope:SCOPE_SYS
	s_wait_storecnt 0x0
	global_atomic_cmpswap_b64 v[16:17], v11, v[16:19], s[2:3] offset:24 th:TH_ATOMIC_RETURN scope:SCOPE_SYS
	s_wait_loadcnt 0x0
	v_cmp_ne_u64_e32 vcc_lo, v[16:17], v[18:19]
	s_and_b32 exec_lo, exec_lo, vcc_lo
	s_cbranch_execz .LBB1_144
; %bb.218:                              ;   in Loop: Header=BB1_145 Depth=1
	s_mov_b32 s12, 0
.LBB1_219:                              ;   Parent Loop BB1_145 Depth=1
                                        ; =>  This Inner Loop Header: Depth=2
	v_dual_mov_b32 v14, s0 :: v_dual_mov_b32 v15, s1
	s_sleep 1
	global_store_b64 v[2:3], v[16:17], off
	global_wb scope:SCOPE_SYS
	s_wait_storecnt 0x0
	global_atomic_cmpswap_b64 v[8:9], v11, v[14:17], s[2:3] offset:24 th:TH_ATOMIC_RETURN scope:SCOPE_SYS
	s_wait_loadcnt 0x0
	v_cmp_eq_u64_e32 vcc_lo, v[8:9], v[16:17]
	v_dual_mov_b32 v17, v9 :: v_dual_mov_b32 v16, v8
	s_wait_alu 0xfffe
	s_or_b32 s12, vcc_lo, s12
	s_wait_alu 0xfffe
	s_and_not1_b32 exec_lo, exec_lo, s12
	s_cbranch_execnz .LBB1_219
	s_branch .LBB1_144
.LBB1_220:
                                        ; implicit-def: $vgpr6_vgpr7
	s_cbranch_execnz .LBB1_222
	s_branch .LBB1_249
.LBB1_221:
	s_branch .LBB1_249
.LBB1_222:
	v_readfirstlane_b32 s0, v37
	v_mov_b32_e32 v10, 0
	v_mov_b32_e32 v11, 0
	s_wait_alu 0xf1ff
	s_delay_alu instid0(VALU_DEP_3)
	v_cmp_eq_u32_e64 s0, s0, v37
	s_and_saveexec_b32 s1, s0
	s_cbranch_execz .LBB1_228
; %bb.223:
	v_mov_b32_e32 v2, 0
	s_mov_b32 s4, exec_lo
	global_load_b64 v[8:9], v2, s[2:3] offset:24 scope:SCOPE_SYS
	s_wait_loadcnt 0x0
	global_inv scope:SCOPE_SYS
	s_clause 0x1
	global_load_b64 v[6:7], v2, s[2:3] offset:40
	global_load_b64 v[10:11], v2, s[2:3]
	s_wait_loadcnt 0x1
	v_and_b32_e32 v3, v7, v9
	v_and_b32_e32 v6, v6, v8
	s_delay_alu instid0(VALU_DEP_2) | instskip(NEXT) | instid1(VALU_DEP_2)
	v_mul_lo_u32 v3, 24, v3
	v_mul_lo_u32 v7, 0, v6
	v_mul_hi_u32 v12, 24, v6
	v_mul_lo_u32 v6, 24, v6
	s_delay_alu instid0(VALU_DEP_3) | instskip(SKIP_1) | instid1(VALU_DEP_2)
	v_add_nc_u32_e32 v3, v3, v7
	s_wait_loadcnt 0x0
	v_add_co_u32 v6, vcc_lo, v10, v6
	s_delay_alu instid0(VALU_DEP_2) | instskip(SKIP_1) | instid1(VALU_DEP_1)
	v_add_nc_u32_e32 v3, v3, v12
	s_wait_alu 0xfffd
	v_add_co_ci_u32_e64 v7, null, v11, v3, vcc_lo
	global_load_b64 v[6:7], v[6:7], off scope:SCOPE_SYS
	s_wait_loadcnt 0x0
	global_atomic_cmpswap_b64 v[10:11], v2, v[6:9], s[2:3] offset:24 th:TH_ATOMIC_RETURN scope:SCOPE_SYS
	s_wait_loadcnt 0x0
	global_inv scope:SCOPE_SYS
	v_cmpx_ne_u64_e64 v[10:11], v[8:9]
	s_cbranch_execz .LBB1_227
; %bb.224:
	s_mov_b32 s5, 0
.LBB1_225:                              ; =>This Inner Loop Header: Depth=1
	s_sleep 1
	s_clause 0x1
	global_load_b64 v[6:7], v2, s[2:3] offset:40
	global_load_b64 v[12:13], v2, s[2:3]
	v_dual_mov_b32 v8, v10 :: v_dual_mov_b32 v9, v11
	s_wait_loadcnt 0x1
	s_delay_alu instid0(VALU_DEP_1) | instskip(NEXT) | instid1(VALU_DEP_2)
	v_and_b32_e32 v3, v6, v8
	v_and_b32_e32 v6, v7, v9
	s_wait_loadcnt 0x0
	s_delay_alu instid0(VALU_DEP_2) | instskip(NEXT) | instid1(VALU_DEP_1)
	v_mad_co_u64_u32 v[10:11], null, v3, 24, v[12:13]
	v_mov_b32_e32 v3, v11
	s_delay_alu instid0(VALU_DEP_1) | instskip(NEXT) | instid1(VALU_DEP_1)
	v_mad_co_u64_u32 v[6:7], null, v6, 24, v[3:4]
	v_mov_b32_e32 v11, v6
	global_load_b64 v[6:7], v[10:11], off scope:SCOPE_SYS
	s_wait_loadcnt 0x0
	global_atomic_cmpswap_b64 v[10:11], v2, v[6:9], s[2:3] offset:24 th:TH_ATOMIC_RETURN scope:SCOPE_SYS
	s_wait_loadcnt 0x0
	global_inv scope:SCOPE_SYS
	v_cmp_eq_u64_e32 vcc_lo, v[10:11], v[8:9]
	s_wait_alu 0xfffe
	s_or_b32 s5, vcc_lo, s5
	s_wait_alu 0xfffe
	s_and_not1_b32 exec_lo, exec_lo, s5
	s_cbranch_execnz .LBB1_225
; %bb.226:
	s_or_b32 exec_lo, exec_lo, s5
.LBB1_227:
	s_wait_alu 0xfffe
	s_or_b32 exec_lo, exec_lo, s4
.LBB1_228:
	s_wait_alu 0xfffe
	s_or_b32 exec_lo, exec_lo, s1
	v_readfirstlane_b32 s5, v11
	v_mov_b32_e32 v2, 0
	v_readfirstlane_b32 s4, v10
	s_mov_b32 s1, exec_lo
	global_load_b64 v[12:13], v2, s[2:3] offset:40
	s_wait_loadcnt 0x1
	global_load_b128 v[6:9], v2, s[2:3]
	s_wait_loadcnt 0x1
	s_wait_alu 0xf1ff
	v_and_b32_e32 v13, s5, v13
	v_and_b32_e32 v12, s4, v12
	s_delay_alu instid0(VALU_DEP_2) | instskip(NEXT) | instid1(VALU_DEP_2)
	v_mul_lo_u32 v3, 24, v13
	v_mul_lo_u32 v10, 0, v12
	v_mul_hi_u32 v11, 24, v12
	v_mul_lo_u32 v14, 24, v12
	s_delay_alu instid0(VALU_DEP_3) | instskip(SKIP_1) | instid1(VALU_DEP_2)
	v_add_nc_u32_e32 v3, v3, v10
	s_wait_loadcnt 0x0
	v_add_co_u32 v10, vcc_lo, v6, v14
	s_delay_alu instid0(VALU_DEP_2) | instskip(SKIP_1) | instid1(VALU_DEP_1)
	v_add_nc_u32_e32 v3, v3, v11
	s_wait_alu 0xfffd
	v_add_co_ci_u32_e64 v11, null, v7, v3, vcc_lo
	s_and_saveexec_b32 s6, s0
	s_cbranch_execz .LBB1_230
; %bb.229:
	s_wait_alu 0xfffe
	v_dual_mov_b32 v14, s1 :: v_dual_mov_b32 v15, v2
	v_dual_mov_b32 v16, 2 :: v_dual_mov_b32 v17, 1
	global_store_b128 v[10:11], v[14:17], off offset:8
.LBB1_230:
	s_wait_alu 0xfffe
	s_or_b32 exec_lo, exec_lo, s6
	v_lshlrev_b64_e32 v[12:13], 12, v[12:13]
	s_mov_b32 s12, 0
	v_and_or_b32 v0, 0xffffff1f, v0, 32
	s_wait_alu 0xfffe
	s_mov_b32 s13, s12
	s_mov_b32 s14, s12
	;; [unrolled: 1-line block ×3, first 2 shown]
	v_add_co_u32 v8, vcc_lo, v8, v12
	s_wait_alu 0xfffd
	v_add_co_ci_u32_e64 v9, null, v9, v13, vcc_lo
	v_dual_mov_b32 v3, v2 :: v_dual_mov_b32 v12, s12
	s_delay_alu instid0(VALU_DEP_3) | instskip(SKIP_1) | instid1(VALU_DEP_4)
	v_readfirstlane_b32 s6, v8
	v_add_co_u32 v8, vcc_lo, v8, v36
	v_readfirstlane_b32 s7, v9
	s_wait_alu 0xfffd
	v_add_co_ci_u32_e64 v9, null, 0, v9, vcc_lo
	s_wait_alu 0xfffe
	v_dual_mov_b32 v13, s13 :: v_dual_mov_b32 v14, s14
	v_mov_b32_e32 v15, s15
	s_clause 0x3
	global_store_b128 v36, v[0:3], s[6:7]
	global_store_b128 v36, v[12:15], s[6:7] offset:16
	global_store_b128 v36, v[12:15], s[6:7] offset:32
	;; [unrolled: 1-line block ×3, first 2 shown]
	s_and_saveexec_b32 s1, s0
	s_cbranch_execz .LBB1_238
; %bb.231:
	v_mov_b32_e32 v12, 0
	s_mov_b32 s6, exec_lo
	s_clause 0x1
	global_load_b64 v[15:16], v12, s[2:3] offset:32 scope:SCOPE_SYS
	global_load_b64 v[0:1], v12, s[2:3] offset:40
	v_dual_mov_b32 v13, s4 :: v_dual_mov_b32 v14, s5
	s_wait_loadcnt 0x0
	v_and_b32_e32 v1, s5, v1
	v_and_b32_e32 v0, s4, v0
	s_delay_alu instid0(VALU_DEP_2) | instskip(NEXT) | instid1(VALU_DEP_2)
	v_mul_lo_u32 v1, 24, v1
	v_mul_lo_u32 v2, 0, v0
	v_mul_hi_u32 v3, 24, v0
	v_mul_lo_u32 v0, 24, v0
	s_delay_alu instid0(VALU_DEP_3) | instskip(NEXT) | instid1(VALU_DEP_2)
	v_add_nc_u32_e32 v1, v1, v2
	v_add_co_u32 v6, vcc_lo, v6, v0
	s_delay_alu instid0(VALU_DEP_2) | instskip(SKIP_1) | instid1(VALU_DEP_1)
	v_add_nc_u32_e32 v1, v1, v3
	s_wait_alu 0xfffd
	v_add_co_ci_u32_e64 v7, null, v7, v1, vcc_lo
	global_store_b64 v[6:7], v[15:16], off
	global_wb scope:SCOPE_SYS
	s_wait_storecnt 0x0
	global_atomic_cmpswap_b64 v[2:3], v12, v[13:16], s[2:3] offset:32 th:TH_ATOMIC_RETURN scope:SCOPE_SYS
	s_wait_loadcnt 0x0
	v_cmpx_ne_u64_e64 v[2:3], v[15:16]
	s_cbranch_execz .LBB1_234
; %bb.232:
	s_mov_b32 s7, 0
.LBB1_233:                              ; =>This Inner Loop Header: Depth=1
	v_dual_mov_b32 v0, s4 :: v_dual_mov_b32 v1, s5
	s_sleep 1
	global_store_b64 v[6:7], v[2:3], off
	global_wb scope:SCOPE_SYS
	s_wait_storecnt 0x0
	global_atomic_cmpswap_b64 v[0:1], v12, v[0:3], s[2:3] offset:32 th:TH_ATOMIC_RETURN scope:SCOPE_SYS
	s_wait_loadcnt 0x0
	v_cmp_eq_u64_e32 vcc_lo, v[0:1], v[2:3]
	v_dual_mov_b32 v3, v1 :: v_dual_mov_b32 v2, v0
	s_wait_alu 0xfffe
	s_or_b32 s7, vcc_lo, s7
	s_wait_alu 0xfffe
	s_and_not1_b32 exec_lo, exec_lo, s7
	s_cbranch_execnz .LBB1_233
.LBB1_234:
	s_wait_alu 0xfffe
	s_or_b32 exec_lo, exec_lo, s6
	v_mov_b32_e32 v3, 0
	s_mov_b32 s7, exec_lo
	s_mov_b32 s6, exec_lo
	s_wait_alu 0xfffe
	v_mbcnt_lo_u32_b32 v2, s7, 0
	global_load_b64 v[0:1], v3, s[2:3] offset:16
	v_cmpx_eq_u32_e32 0, v2
	s_cbranch_execz .LBB1_236
; %bb.235:
	s_bcnt1_i32_b32 s7, s7
	s_wait_alu 0xfffe
	v_mov_b32_e32 v2, s7
	global_wb scope:SCOPE_SYS
	s_wait_loadcnt 0x0
	s_wait_storecnt 0x0
	global_atomic_add_u64 v[0:1], v[2:3], off offset:8 scope:SCOPE_SYS
.LBB1_236:
	s_or_b32 exec_lo, exec_lo, s6
	s_wait_loadcnt 0x0
	global_load_b64 v[2:3], v[0:1], off offset:16
	s_wait_loadcnt 0x0
	v_cmp_eq_u64_e32 vcc_lo, 0, v[2:3]
	s_cbranch_vccnz .LBB1_238
; %bb.237:
	global_load_b32 v0, v[0:1], off offset:24
	v_mov_b32_e32 v1, 0
	s_wait_loadcnt 0x0
	v_readfirstlane_b32 s6, v0
	global_wb scope:SCOPE_SYS
	s_wait_storecnt 0x0
	global_store_b64 v[2:3], v[0:1], off scope:SCOPE_SYS
	s_and_b32 m0, s6, 0xffffff
	s_sendmsg sendmsg(MSG_INTERRUPT)
.LBB1_238:
	s_wait_alu 0xfffe
	s_or_b32 exec_lo, exec_lo, s1
	s_branch .LBB1_242
.LBB1_239:                              ;   in Loop: Header=BB1_242 Depth=1
	s_wait_alu 0xfffe
	s_or_b32 exec_lo, exec_lo, s1
	s_delay_alu instid0(VALU_DEP_1)
	v_readfirstlane_b32 s1, v0
	s_cmp_eq_u32 s1, 0
	s_cbranch_scc1 .LBB1_241
; %bb.240:                              ;   in Loop: Header=BB1_242 Depth=1
	s_sleep 1
	s_cbranch_execnz .LBB1_242
	s_branch .LBB1_244
.LBB1_241:
	s_branch .LBB1_244
.LBB1_242:                              ; =>This Inner Loop Header: Depth=1
	v_mov_b32_e32 v0, 1
	s_and_saveexec_b32 s1, s0
	s_cbranch_execz .LBB1_239
; %bb.243:                              ;   in Loop: Header=BB1_242 Depth=1
	global_load_b32 v0, v[10:11], off offset:20 scope:SCOPE_SYS
	s_wait_loadcnt 0x0
	global_inv scope:SCOPE_SYS
	v_and_b32_e32 v0, 1, v0
	s_branch .LBB1_239
.LBB1_244:
	global_load_b64 v[6:7], v[8:9], off
	s_and_saveexec_b32 s6, s0
	s_cbranch_execz .LBB1_248
; %bb.245:
	v_mov_b32_e32 v10, 0
	s_clause 0x2
	global_load_b64 v[0:1], v10, s[2:3] offset:40
	global_load_b64 v[13:14], v10, s[2:3] offset:24 scope:SCOPE_SYS
	global_load_b64 v[2:3], v10, s[2:3]
	s_wait_loadcnt 0x2
	v_readfirstlane_b32 s10, v0
	v_readfirstlane_b32 s11, v1
	s_add_nc_u64 s[0:1], s[10:11], 1
	s_wait_alu 0xfffe
	s_add_nc_u64 s[4:5], s[0:1], s[4:5]
	s_wait_alu 0xfffe
	s_cmp_eq_u64 s[4:5], 0
	s_cselect_b32 s1, s1, s5
	s_cselect_b32 s0, s0, s4
	s_wait_alu 0xfffe
	v_mov_b32_e32 v12, s1
	s_and_b64 s[4:5], s[0:1], s[10:11]
	v_mov_b32_e32 v11, s0
	s_wait_alu 0xfffe
	s_mul_u64 s[4:5], s[4:5], 24
	s_wait_loadcnt 0x0
	s_wait_alu 0xfffe
	v_add_co_u32 v8, vcc_lo, v2, s4
	s_wait_alu 0xfffd
	v_add_co_ci_u32_e64 v9, null, s5, v3, vcc_lo
	global_store_b64 v[8:9], v[13:14], off
	global_wb scope:SCOPE_SYS
	s_wait_storecnt 0x0
	global_atomic_cmpswap_b64 v[2:3], v10, v[11:14], s[2:3] offset:24 th:TH_ATOMIC_RETURN scope:SCOPE_SYS
	s_wait_loadcnt 0x0
	v_cmp_ne_u64_e32 vcc_lo, v[2:3], v[13:14]
	s_and_b32 exec_lo, exec_lo, vcc_lo
	s_cbranch_execz .LBB1_248
; %bb.246:
	s_mov_b32 s4, 0
.LBB1_247:                              ; =>This Inner Loop Header: Depth=1
	v_dual_mov_b32 v0, s0 :: v_dual_mov_b32 v1, s1
	s_sleep 1
	global_store_b64 v[8:9], v[2:3], off
	global_wb scope:SCOPE_SYS
	s_wait_storecnt 0x0
	global_atomic_cmpswap_b64 v[0:1], v10, v[0:3], s[2:3] offset:24 th:TH_ATOMIC_RETURN scope:SCOPE_SYS
	s_wait_loadcnt 0x0
	v_cmp_eq_u64_e32 vcc_lo, v[0:1], v[2:3]
	v_dual_mov_b32 v3, v1 :: v_dual_mov_b32 v2, v0
	s_wait_alu 0xfffe
	s_or_b32 s4, vcc_lo, s4
	s_wait_alu 0xfffe
	s_and_not1_b32 exec_lo, exec_lo, s4
	s_cbranch_execnz .LBB1_247
.LBB1_248:
	s_wait_alu 0xfffe
	s_or_b32 exec_lo, exec_lo, s6
.LBB1_249:
	v_readfirstlane_b32 s0, v37
	v_mov_b32_e32 v10, 0
	v_mov_b32_e32 v11, 0
	s_wait_alu 0xf1ff
	s_delay_alu instid0(VALU_DEP_3)
	v_cmp_eq_u32_e64 s0, s0, v37
	s_and_saveexec_b32 s1, s0
	s_cbranch_execz .LBB1_255
; %bb.250:
	s_wait_loadcnt 0x0
	v_mov_b32_e32 v0, 0
	s_mov_b32 s4, exec_lo
	global_load_b64 v[12:13], v0, s[2:3] offset:24 scope:SCOPE_SYS
	s_wait_loadcnt 0x0
	global_inv scope:SCOPE_SYS
	s_clause 0x1
	global_load_b64 v[1:2], v0, s[2:3] offset:40
	global_load_b64 v[8:9], v0, s[2:3]
	s_wait_loadcnt 0x1
	v_and_b32_e32 v2, v2, v13
	v_and_b32_e32 v1, v1, v12
	s_delay_alu instid0(VALU_DEP_2) | instskip(NEXT) | instid1(VALU_DEP_2)
	v_mul_lo_u32 v2, 24, v2
	v_mul_lo_u32 v3, 0, v1
	v_mul_hi_u32 v10, 24, v1
	v_mul_lo_u32 v1, 24, v1
	s_delay_alu instid0(VALU_DEP_3) | instskip(SKIP_1) | instid1(VALU_DEP_2)
	v_add_nc_u32_e32 v2, v2, v3
	s_wait_loadcnt 0x0
	v_add_co_u32 v1, vcc_lo, v8, v1
	s_delay_alu instid0(VALU_DEP_2) | instskip(SKIP_1) | instid1(VALU_DEP_1)
	v_add_nc_u32_e32 v2, v2, v10
	s_wait_alu 0xfffd
	v_add_co_ci_u32_e64 v2, null, v9, v2, vcc_lo
	global_load_b64 v[10:11], v[1:2], off scope:SCOPE_SYS
	s_wait_loadcnt 0x0
	global_atomic_cmpswap_b64 v[10:11], v0, v[10:13], s[2:3] offset:24 th:TH_ATOMIC_RETURN scope:SCOPE_SYS
	s_wait_loadcnt 0x0
	global_inv scope:SCOPE_SYS
	v_cmpx_ne_u64_e64 v[10:11], v[12:13]
	s_cbranch_execz .LBB1_254
; %bb.251:
	s_mov_b32 s5, 0
.LBB1_252:                              ; =>This Inner Loop Header: Depth=1
	s_sleep 1
	s_clause 0x1
	global_load_b64 v[1:2], v0, s[2:3] offset:40
	global_load_b64 v[8:9], v0, s[2:3]
	v_dual_mov_b32 v13, v11 :: v_dual_mov_b32 v12, v10
	s_wait_loadcnt 0x1
	s_delay_alu instid0(VALU_DEP_1) | instskip(SKIP_1) | instid1(VALU_DEP_1)
	v_and_b32_e32 v1, v1, v12
	s_wait_loadcnt 0x0
	v_mad_co_u64_u32 v[8:9], null, v1, 24, v[8:9]
	s_delay_alu instid0(VALU_DEP_1) | instskip(NEXT) | instid1(VALU_DEP_1)
	v_dual_mov_b32 v1, v9 :: v_dual_and_b32 v2, v2, v13
	v_mad_co_u64_u32 v[1:2], null, v2, 24, v[1:2]
	s_delay_alu instid0(VALU_DEP_1)
	v_mov_b32_e32 v9, v1
	global_load_b64 v[10:11], v[8:9], off scope:SCOPE_SYS
	s_wait_loadcnt 0x0
	global_atomic_cmpswap_b64 v[10:11], v0, v[10:13], s[2:3] offset:24 th:TH_ATOMIC_RETURN scope:SCOPE_SYS
	s_wait_loadcnt 0x0
	global_inv scope:SCOPE_SYS
	v_cmp_eq_u64_e32 vcc_lo, v[10:11], v[12:13]
	s_wait_alu 0xfffe
	s_or_b32 s5, vcc_lo, s5
	s_wait_alu 0xfffe
	s_and_not1_b32 exec_lo, exec_lo, s5
	s_cbranch_execnz .LBB1_252
; %bb.253:
	s_or_b32 exec_lo, exec_lo, s5
.LBB1_254:
	s_wait_alu 0xfffe
	s_or_b32 exec_lo, exec_lo, s4
.LBB1_255:
	s_wait_alu 0xfffe
	s_or_b32 exec_lo, exec_lo, s1
	v_readfirstlane_b32 s4, v10
	v_mov_b32_e32 v9, 0
	v_readfirstlane_b32 s5, v11
	s_mov_b32 s1, exec_lo
	global_load_b64 v[12:13], v9, s[2:3] offset:40
	s_wait_loadcnt 0x1
	global_load_b128 v[0:3], v9, s[2:3]
	s_wait_loadcnt 0x1
	s_wait_alu 0xf1ff
	v_and_b32_e32 v13, s5, v13
	v_and_b32_e32 v12, s4, v12
	s_delay_alu instid0(VALU_DEP_2) | instskip(NEXT) | instid1(VALU_DEP_2)
	v_mul_lo_u32 v8, 24, v13
	v_mul_lo_u32 v10, 0, v12
	v_mul_hi_u32 v11, 24, v12
	v_mul_lo_u32 v14, 24, v12
	s_delay_alu instid0(VALU_DEP_3) | instskip(SKIP_1) | instid1(VALU_DEP_2)
	v_add_nc_u32_e32 v8, v8, v10
	s_wait_loadcnt 0x0
	v_add_co_u32 v10, vcc_lo, v0, v14
	s_delay_alu instid0(VALU_DEP_2) | instskip(SKIP_1) | instid1(VALU_DEP_1)
	v_add_nc_u32_e32 v8, v8, v11
	s_wait_alu 0xfffd
	v_add_co_ci_u32_e64 v11, null, v1, v8, vcc_lo
	s_and_saveexec_b32 s6, s0
	s_cbranch_execz .LBB1_257
; %bb.256:
	s_wait_alu 0xfffe
	v_dual_mov_b32 v8, s1 :: v_dual_mov_b32 v17, 1
	v_dual_mov_b32 v16, 2 :: v_dual_mov_b32 v15, v9
	s_delay_alu instid0(VALU_DEP_2)
	v_mov_b32_e32 v14, v8
	global_store_b128 v[10:11], v[14:17], off offset:8
.LBB1_257:
	s_wait_alu 0xfffe
	s_or_b32 exec_lo, exec_lo, s6
	v_lshlrev_b64_e32 v[12:13], 12, v[12:13]
	s_mov_b32 s12, 0
	v_and_or_b32 v6, 0xffffff1f, v6, 32
	s_wait_alu 0xfffe
	s_mov_b32 s15, s12
	s_mov_b32 s13, s12
	;; [unrolled: 1-line block ×3, first 2 shown]
	v_add_co_u32 v2, vcc_lo, v2, v12
	s_wait_alu 0xfffd
	v_add_co_ci_u32_e64 v3, null, v3, v13, vcc_lo
	s_wait_alu 0xfffe
	v_dual_mov_b32 v8, 0x331 :: v_dual_mov_b32 v17, s15
	v_add_co_u32 v12, vcc_lo, v2, v36
	v_readfirstlane_b32 s6, v2
	v_readfirstlane_b32 s7, v3
	s_wait_alu 0xfffd
	v_add_co_ci_u32_e64 v13, null, 0, v3, vcc_lo
	v_dual_mov_b32 v16, s14 :: v_dual_mov_b32 v15, s13
	v_mov_b32_e32 v14, s12
	s_clause 0x3
	global_store_b128 v36, v[6:9], s[6:7]
	global_store_b128 v36, v[14:17], s[6:7] offset:16
	global_store_b128 v36, v[14:17], s[6:7] offset:32
	;; [unrolled: 1-line block ×3, first 2 shown]
	s_and_saveexec_b32 s1, s0
	s_cbranch_execz .LBB1_265
; %bb.258:
	v_mov_b32_e32 v8, 0
	s_mov_b32 s6, exec_lo
	s_clause 0x1
	global_load_b64 v[16:17], v8, s[2:3] offset:32 scope:SCOPE_SYS
	global_load_b64 v[2:3], v8, s[2:3] offset:40
	v_dual_mov_b32 v15, s5 :: v_dual_mov_b32 v14, s4
	s_wait_loadcnt 0x0
	v_and_b32_e32 v3, s5, v3
	v_and_b32_e32 v2, s4, v2
	s_delay_alu instid0(VALU_DEP_2) | instskip(NEXT) | instid1(VALU_DEP_2)
	v_mul_lo_u32 v3, 24, v3
	v_mul_lo_u32 v6, 0, v2
	v_mul_hi_u32 v7, 24, v2
	v_mul_lo_u32 v2, 24, v2
	s_delay_alu instid0(VALU_DEP_3) | instskip(NEXT) | instid1(VALU_DEP_2)
	v_add_nc_u32_e32 v3, v3, v6
	v_add_co_u32 v6, vcc_lo, v0, v2
	s_delay_alu instid0(VALU_DEP_2) | instskip(SKIP_1) | instid1(VALU_DEP_1)
	v_add_nc_u32_e32 v3, v3, v7
	s_wait_alu 0xfffd
	v_add_co_ci_u32_e64 v7, null, v1, v3, vcc_lo
	global_store_b64 v[6:7], v[16:17], off
	global_wb scope:SCOPE_SYS
	s_wait_storecnt 0x0
	global_atomic_cmpswap_b64 v[2:3], v8, v[14:17], s[2:3] offset:32 th:TH_ATOMIC_RETURN scope:SCOPE_SYS
	s_wait_loadcnt 0x0
	v_cmpx_ne_u64_e64 v[2:3], v[16:17]
	s_cbranch_execz .LBB1_261
; %bb.259:
	s_mov_b32 s7, 0
.LBB1_260:                              ; =>This Inner Loop Header: Depth=1
	v_dual_mov_b32 v0, s4 :: v_dual_mov_b32 v1, s5
	s_sleep 1
	global_store_b64 v[6:7], v[2:3], off
	global_wb scope:SCOPE_SYS
	s_wait_storecnt 0x0
	global_atomic_cmpswap_b64 v[0:1], v8, v[0:3], s[2:3] offset:32 th:TH_ATOMIC_RETURN scope:SCOPE_SYS
	s_wait_loadcnt 0x0
	v_cmp_eq_u64_e32 vcc_lo, v[0:1], v[2:3]
	v_dual_mov_b32 v3, v1 :: v_dual_mov_b32 v2, v0
	s_wait_alu 0xfffe
	s_or_b32 s7, vcc_lo, s7
	s_wait_alu 0xfffe
	s_and_not1_b32 exec_lo, exec_lo, s7
	s_cbranch_execnz .LBB1_260
.LBB1_261:
	s_wait_alu 0xfffe
	s_or_b32 exec_lo, exec_lo, s6
	v_mov_b32_e32 v3, 0
	s_mov_b32 s7, exec_lo
	s_mov_b32 s6, exec_lo
	s_wait_alu 0xfffe
	v_mbcnt_lo_u32_b32 v2, s7, 0
	global_load_b64 v[0:1], v3, s[2:3] offset:16
	v_cmpx_eq_u32_e32 0, v2
	s_cbranch_execz .LBB1_263
; %bb.262:
	s_bcnt1_i32_b32 s7, s7
	s_wait_alu 0xfffe
	v_mov_b32_e32 v2, s7
	global_wb scope:SCOPE_SYS
	s_wait_loadcnt 0x0
	s_wait_storecnt 0x0
	global_atomic_add_u64 v[0:1], v[2:3], off offset:8 scope:SCOPE_SYS
.LBB1_263:
	s_or_b32 exec_lo, exec_lo, s6
	s_wait_loadcnt 0x0
	global_load_b64 v[2:3], v[0:1], off offset:16
	s_wait_loadcnt 0x0
	v_cmp_eq_u64_e32 vcc_lo, 0, v[2:3]
	s_cbranch_vccnz .LBB1_265
; %bb.264:
	global_load_b32 v0, v[0:1], off offset:24
	v_mov_b32_e32 v1, 0
	s_wait_loadcnt 0x0
	v_readfirstlane_b32 s6, v0
	global_wb scope:SCOPE_SYS
	s_wait_storecnt 0x0
	global_store_b64 v[2:3], v[0:1], off scope:SCOPE_SYS
	s_and_b32 m0, s6, 0xffffff
	s_sendmsg sendmsg(MSG_INTERRUPT)
.LBB1_265:
	s_wait_alu 0xfffe
	s_or_b32 exec_lo, exec_lo, s1
	s_branch .LBB1_269
.LBB1_266:                              ;   in Loop: Header=BB1_269 Depth=1
	s_wait_alu 0xfffe
	s_or_b32 exec_lo, exec_lo, s1
	s_delay_alu instid0(VALU_DEP_1)
	v_readfirstlane_b32 s1, v0
	s_cmp_eq_u32 s1, 0
	s_cbranch_scc1 .LBB1_268
; %bb.267:                              ;   in Loop: Header=BB1_269 Depth=1
	s_sleep 1
	s_cbranch_execnz .LBB1_269
	s_branch .LBB1_271
.LBB1_268:
	s_branch .LBB1_271
.LBB1_269:                              ; =>This Inner Loop Header: Depth=1
	v_mov_b32_e32 v0, 1
	s_and_saveexec_b32 s1, s0
	s_cbranch_execz .LBB1_266
; %bb.270:                              ;   in Loop: Header=BB1_269 Depth=1
	global_load_b32 v0, v[10:11], off offset:20 scope:SCOPE_SYS
	s_wait_loadcnt 0x0
	global_inv scope:SCOPE_SYS
	v_and_b32_e32 v0, 1, v0
	s_branch .LBB1_266
.LBB1_271:
	global_load_b64 v[0:1], v[12:13], off
	s_and_saveexec_b32 s6, s0
	s_cbranch_execz .LBB1_275
; %bb.272:
	v_mov_b32_e32 v10, 0
	s_clause 0x2
	global_load_b64 v[2:3], v10, s[2:3] offset:40
	global_load_b64 v[13:14], v10, s[2:3] offset:24 scope:SCOPE_SYS
	global_load_b64 v[6:7], v10, s[2:3]
	s_wait_loadcnt 0x2
	v_readfirstlane_b32 s10, v2
	v_readfirstlane_b32 s11, v3
	s_add_nc_u64 s[0:1], s[10:11], 1
	s_wait_alu 0xfffe
	s_add_nc_u64 s[4:5], s[0:1], s[4:5]
	s_wait_alu 0xfffe
	s_cmp_eq_u64 s[4:5], 0
	s_cselect_b32 s1, s1, s5
	s_cselect_b32 s0, s0, s4
	s_wait_alu 0xfffe
	v_mov_b32_e32 v12, s1
	s_and_b64 s[4:5], s[0:1], s[10:11]
	v_mov_b32_e32 v11, s0
	s_wait_alu 0xfffe
	s_mul_u64 s[4:5], s[4:5], 24
	s_wait_loadcnt 0x0
	s_wait_alu 0xfffe
	v_add_co_u32 v2, vcc_lo, v6, s4
	s_wait_alu 0xfffd
	v_add_co_ci_u32_e64 v3, null, s5, v7, vcc_lo
	global_store_b64 v[2:3], v[13:14], off
	global_wb scope:SCOPE_SYS
	s_wait_storecnt 0x0
	global_atomic_cmpswap_b64 v[8:9], v10, v[11:14], s[2:3] offset:24 th:TH_ATOMIC_RETURN scope:SCOPE_SYS
	s_wait_loadcnt 0x0
	v_cmp_ne_u64_e32 vcc_lo, v[8:9], v[13:14]
	s_and_b32 exec_lo, exec_lo, vcc_lo
	s_cbranch_execz .LBB1_275
; %bb.273:
	s_mov_b32 s4, 0
.LBB1_274:                              ; =>This Inner Loop Header: Depth=1
	v_dual_mov_b32 v6, s0 :: v_dual_mov_b32 v7, s1
	s_sleep 1
	global_store_b64 v[2:3], v[8:9], off
	global_wb scope:SCOPE_SYS
	s_wait_storecnt 0x0
	global_atomic_cmpswap_b64 v[6:7], v10, v[6:9], s[2:3] offset:24 th:TH_ATOMIC_RETURN scope:SCOPE_SYS
	s_wait_loadcnt 0x0
	v_cmp_eq_u64_e32 vcc_lo, v[6:7], v[8:9]
	v_dual_mov_b32 v9, v7 :: v_dual_mov_b32 v8, v6
	s_wait_alu 0xfffe
	s_or_b32 s4, vcc_lo, s4
	s_wait_alu 0xfffe
	s_and_not1_b32 exec_lo, exec_lo, s4
	s_cbranch_execnz .LBB1_274
.LBB1_275:
	s_wait_alu 0xfffe
	s_or_b32 exec_lo, exec_lo, s6
	v_dual_mov_b32 v7, v5 :: v_dual_mov_b32 v6, v4
	s_mov_b32 s0, 0
.LBB1_276:                              ; =>This Inner Loop Header: Depth=1
	global_load_u8 v8, v[6:7], off
	v_add_co_u32 v2, vcc_lo, v6, 1
	s_wait_alu 0xfffd
	v_add_co_ci_u32_e64 v3, null, 0, v7, vcc_lo
	s_delay_alu instid0(VALU_DEP_1)
	v_dual_mov_b32 v7, v3 :: v_dual_mov_b32 v6, v2
	s_wait_loadcnt 0x0
	v_cmp_eq_u16_e32 vcc_lo, 0, v8
	s_wait_alu 0xfffe
	s_or_b32 s0, vcc_lo, s0
	s_wait_alu 0xfffe
	s_and_not1_b32 exec_lo, exec_lo, s0
	s_cbranch_execnz .LBB1_276
; %bb.277:
	s_or_b32 exec_lo, exec_lo, s0
	s_delay_alu instid0(SALU_CYCLE_1)
	s_mov_b32 s0, exec_lo
	v_cmpx_ne_u64_e32 0, v[4:5]
	s_wait_alu 0xfffe
	s_xor_b32 s6, exec_lo, s0
	s_cbranch_execz .LBB1_363
; %bb.278:
	v_sub_nc_u32_e32 v26, v2, v4
	v_dual_mov_b32 v7, 0 :: v_dual_and_b32 v34, 2, v0
	v_dual_mov_b32 v9, 1 :: v_dual_and_b32 v0, -3, v0
	v_mov_b32_e32 v8, 2
	s_delay_alu instid0(VALU_DEP_4)
	v_ashrrev_i32_e32 v27, 31, v26
	s_mov_b32 s10, 0
	s_mov_b32 s7, 0
	s_branch .LBB1_280
.LBB1_279:                              ;   in Loop: Header=BB1_280 Depth=1
	s_wait_alu 0xfffe
	s_or_b32 exec_lo, exec_lo, s11
	v_sub_co_u32 v26, vcc_lo, v26, v28
	s_wait_alu 0xfffd
	v_sub_co_ci_u32_e64 v27, null, v27, v29, vcc_lo
	v_add_co_u32 v4, s0, v4, v28
	s_wait_alu 0xf1ff
	v_add_co_ci_u32_e64 v5, null, v5, v29, s0
	s_delay_alu instid0(VALU_DEP_3)
	v_cmp_eq_u64_e32 vcc_lo, 0, v[26:27]
	s_or_b32 s7, vcc_lo, s7
	s_wait_alu 0xfffe
	s_and_not1_b32 exec_lo, exec_lo, s7
	s_cbranch_execz .LBB1_362
.LBB1_280:                              ; =>This Loop Header: Depth=1
                                        ;     Child Loop BB1_283 Depth 2
                                        ;     Child Loop BB1_291 Depth 2
	;; [unrolled: 1-line block ×11, first 2 shown]
	s_delay_alu instid0(VALU_DEP_1)
	v_cmp_gt_u64_e32 vcc_lo, 56, v[26:27]
	s_mov_b32 s1, exec_lo
	s_wait_alu 0xfffd
	v_dual_cndmask_b32 v29, 0, v27 :: v_dual_cndmask_b32 v28, 56, v26
	v_add_co_u32 v12, vcc_lo, v4, 8
	s_wait_alu 0xfffd
	v_add_co_ci_u32_e64 v13, null, 0, v5, vcc_lo
	v_cmpx_gt_u64_e32 8, v[26:27]
	s_wait_alu 0xfffe
	s_xor_b32 s1, exec_lo, s1
	s_cbranch_execz .LBB1_286
; %bb.281:                              ;   in Loop: Header=BB1_280 Depth=1
	v_mov_b32_e32 v2, 0
	v_mov_b32_e32 v3, 0
	s_mov_b32 s11, exec_lo
	v_cmpx_ne_u64_e32 0, v[26:27]
	s_cbranch_execz .LBB1_285
; %bb.282:                              ;   in Loop: Header=BB1_280 Depth=1
	v_lshlrev_b64_e32 v[10:11], 3, v[28:29]
	v_mov_b32_e32 v2, 0
	v_dual_mov_b32 v3, 0 :: v_dual_mov_b32 v12, v5
	v_mov_b32_e32 v11, v4
	s_mov_b64 s[4:5], 0
	s_mov_b32 s12, 0
.LBB1_283:                              ;   Parent Loop BB1_280 Depth=1
                                        ; =>  This Inner Loop Header: Depth=2
	global_load_u8 v6, v[11:12], off
	v_mov_b32_e32 v14, s10
	v_add_co_u32 v11, vcc_lo, v11, 1
	s_wait_alu 0xfffd
	v_add_co_ci_u32_e64 v12, null, 0, v12, vcc_lo
	s_wait_loadcnt 0x0
	v_and_b32_e32 v13, 0xffff, v6
	s_wait_alu 0xfffe
	s_delay_alu instid0(VALU_DEP_1) | instskip(SKIP_3) | instid1(VALU_DEP_2)
	v_lshlrev_b64_e32 v[13:14], s4, v[13:14]
	s_add_nc_u64 s[4:5], s[4:5], 8
	s_wait_alu 0xfffe
	v_cmp_eq_u32_e64 s0, s4, v10
	v_or_b32_e32 v3, v14, v3
	s_delay_alu instid0(VALU_DEP_3)
	v_or_b32_e32 v2, v13, v2
	s_or_b32 s12, s0, s12
	s_wait_alu 0xfffe
	s_and_not1_b32 exec_lo, exec_lo, s12
	s_cbranch_execnz .LBB1_283
; %bb.284:                              ;   in Loop: Header=BB1_280 Depth=1
	s_or_b32 exec_lo, exec_lo, s12
.LBB1_285:                              ;   in Loop: Header=BB1_280 Depth=1
	s_wait_alu 0xfffe
	s_or_b32 exec_lo, exec_lo, s11
	v_dual_mov_b32 v13, v5 :: v_dual_mov_b32 v12, v4
.LBB1_286:                              ;   in Loop: Header=BB1_280 Depth=1
	s_wait_alu 0xfffe
	s_or_saveexec_b32 s0, s1
	v_mov_b32_e32 v6, 0
	s_wait_alu 0xfffe
	s_xor_b32 exec_lo, exec_lo, s0
	s_cbranch_execz .LBB1_288
; %bb.287:                              ;   in Loop: Header=BB1_280 Depth=1
	global_load_b64 v[2:3], v[4:5], off
	v_add_nc_u32_e32 v6, -8, v28
.LBB1_288:                              ;   in Loop: Header=BB1_280 Depth=1
	s_or_b32 exec_lo, exec_lo, s0
	v_add_co_u32 v14, s0, v12, 8
	s_wait_alu 0xf1ff
	v_add_co_ci_u32_e64 v15, null, 0, v13, s0
                                        ; implicit-def: $vgpr10_vgpr11
	s_mov_b32 s0, exec_lo
	v_cmpx_gt_u32_e32 8, v6
	s_wait_alu 0xfffe
	s_xor_b32 s11, exec_lo, s0
	s_cbranch_execz .LBB1_294
; %bb.289:                              ;   in Loop: Header=BB1_280 Depth=1
	v_mov_b32_e32 v10, 0
	v_mov_b32_e32 v11, 0
	s_mov_b32 s12, exec_lo
	v_cmpx_ne_u32_e32 0, v6
	s_cbranch_execz .LBB1_293
; %bb.290:                              ;   in Loop: Header=BB1_280 Depth=1
	v_mov_b32_e32 v10, 0
	v_mov_b32_e32 v11, 0
	s_mov_b64 s[0:1], 0
	s_mov_b32 s13, 0
	s_mov_b64 s[4:5], 0
.LBB1_291:                              ;   Parent Loop BB1_280 Depth=1
                                        ; =>  This Inner Loop Header: Depth=2
	s_wait_alu 0xfffe
	v_add_co_u32 v14, vcc_lo, v12, s4
	s_wait_alu 0xfffd
	v_add_co_ci_u32_e64 v15, null, s5, v13, vcc_lo
	s_add_nc_u64 s[4:5], s[4:5], 1
	s_wait_alu 0xfffe
	v_cmp_eq_u32_e32 vcc_lo, s4, v6
	global_load_u8 v14, v[14:15], off
	v_mov_b32_e32 v15, s10
	s_or_b32 s13, vcc_lo, s13
	s_wait_loadcnt 0x0
	v_and_b32_e32 v14, 0xffff, v14
	s_delay_alu instid0(VALU_DEP_1) | instskip(SKIP_1) | instid1(VALU_DEP_1)
	v_lshlrev_b64_e32 v[14:15], s0, v[14:15]
	s_add_nc_u64 s[0:1], s[0:1], 8
	v_or_b32_e32 v11, v15, v11
	s_delay_alu instid0(VALU_DEP_2)
	v_or_b32_e32 v10, v14, v10
	s_wait_alu 0xfffe
	s_and_not1_b32 exec_lo, exec_lo, s13
	s_cbranch_execnz .LBB1_291
; %bb.292:                              ;   in Loop: Header=BB1_280 Depth=1
	s_or_b32 exec_lo, exec_lo, s13
.LBB1_293:                              ;   in Loop: Header=BB1_280 Depth=1
	s_wait_alu 0xfffe
	s_or_b32 exec_lo, exec_lo, s12
	v_dual_mov_b32 v15, v13 :: v_dual_mov_b32 v14, v12
                                        ; implicit-def: $vgpr6
.LBB1_294:                              ;   in Loop: Header=BB1_280 Depth=1
	s_wait_alu 0xfffe
	s_or_saveexec_b32 s0, s11
	v_mov_b32_e32 v18, 0
	s_wait_alu 0xfffe
	s_xor_b32 exec_lo, exec_lo, s0
	s_cbranch_execz .LBB1_296
; %bb.295:                              ;   in Loop: Header=BB1_280 Depth=1
	global_load_b64 v[10:11], v[12:13], off
	v_add_nc_u32_e32 v18, -8, v6
.LBB1_296:                              ;   in Loop: Header=BB1_280 Depth=1
	s_or_b32 exec_lo, exec_lo, s0
	v_add_co_u32 v16, s0, v14, 8
	s_wait_alu 0xf1ff
	v_add_co_ci_u32_e64 v17, null, 0, v15, s0
	s_mov_b32 s0, exec_lo
	v_cmpx_gt_u32_e32 8, v18
	s_wait_alu 0xfffe
	s_xor_b32 s11, exec_lo, s0
	s_cbranch_execz .LBB1_302
; %bb.297:                              ;   in Loop: Header=BB1_280 Depth=1
	v_mov_b32_e32 v12, 0
	v_mov_b32_e32 v13, 0
	s_mov_b32 s12, exec_lo
	v_cmpx_ne_u32_e32 0, v18
	s_cbranch_execz .LBB1_301
; %bb.298:                              ;   in Loop: Header=BB1_280 Depth=1
	v_mov_b32_e32 v12, 0
	v_mov_b32_e32 v13, 0
	s_mov_b64 s[0:1], 0
	s_mov_b32 s13, 0
	s_mov_b64 s[4:5], 0
.LBB1_299:                              ;   Parent Loop BB1_280 Depth=1
                                        ; =>  This Inner Loop Header: Depth=2
	s_wait_alu 0xfffe
	v_add_co_u32 v16, vcc_lo, v14, s4
	s_wait_alu 0xfffd
	v_add_co_ci_u32_e64 v17, null, s5, v15, vcc_lo
	s_add_nc_u64 s[4:5], s[4:5], 1
	s_wait_alu 0xfffe
	v_cmp_eq_u32_e32 vcc_lo, s4, v18
	global_load_u8 v6, v[16:17], off
	v_mov_b32_e32 v17, s10
	s_or_b32 s13, vcc_lo, s13
	s_wait_loadcnt 0x0
	v_and_b32_e32 v16, 0xffff, v6
	s_delay_alu instid0(VALU_DEP_1) | instskip(SKIP_1) | instid1(VALU_DEP_1)
	v_lshlrev_b64_e32 v[16:17], s0, v[16:17]
	s_add_nc_u64 s[0:1], s[0:1], 8
	v_or_b32_e32 v13, v17, v13
	s_delay_alu instid0(VALU_DEP_2)
	v_or_b32_e32 v12, v16, v12
	s_wait_alu 0xfffe
	s_and_not1_b32 exec_lo, exec_lo, s13
	s_cbranch_execnz .LBB1_299
; %bb.300:                              ;   in Loop: Header=BB1_280 Depth=1
	s_or_b32 exec_lo, exec_lo, s13
.LBB1_301:                              ;   in Loop: Header=BB1_280 Depth=1
	s_wait_alu 0xfffe
	s_or_b32 exec_lo, exec_lo, s12
	v_dual_mov_b32 v17, v15 :: v_dual_mov_b32 v16, v14
                                        ; implicit-def: $vgpr18
.LBB1_302:                              ;   in Loop: Header=BB1_280 Depth=1
	s_wait_alu 0xfffe
	s_or_saveexec_b32 s0, s11
	v_mov_b32_e32 v6, 0
	s_wait_alu 0xfffe
	s_xor_b32 exec_lo, exec_lo, s0
	s_cbranch_execz .LBB1_304
; %bb.303:                              ;   in Loop: Header=BB1_280 Depth=1
	global_load_b64 v[12:13], v[14:15], off
	v_add_nc_u32_e32 v6, -8, v18
.LBB1_304:                              ;   in Loop: Header=BB1_280 Depth=1
	s_or_b32 exec_lo, exec_lo, s0
	v_add_co_u32 v18, s0, v16, 8
	s_wait_alu 0xf1ff
	v_add_co_ci_u32_e64 v19, null, 0, v17, s0
                                        ; implicit-def: $vgpr14_vgpr15
	s_mov_b32 s0, exec_lo
	v_cmpx_gt_u32_e32 8, v6
	s_wait_alu 0xfffe
	s_xor_b32 s11, exec_lo, s0
	s_cbranch_execz .LBB1_310
; %bb.305:                              ;   in Loop: Header=BB1_280 Depth=1
	v_mov_b32_e32 v14, 0
	v_mov_b32_e32 v15, 0
	s_mov_b32 s12, exec_lo
	v_cmpx_ne_u32_e32 0, v6
	s_cbranch_execz .LBB1_309
; %bb.306:                              ;   in Loop: Header=BB1_280 Depth=1
	v_mov_b32_e32 v14, 0
	v_mov_b32_e32 v15, 0
	s_mov_b64 s[0:1], 0
	s_mov_b32 s13, 0
	s_mov_b64 s[4:5], 0
.LBB1_307:                              ;   Parent Loop BB1_280 Depth=1
                                        ; =>  This Inner Loop Header: Depth=2
	s_wait_alu 0xfffe
	v_add_co_u32 v18, vcc_lo, v16, s4
	s_wait_alu 0xfffd
	v_add_co_ci_u32_e64 v19, null, s5, v17, vcc_lo
	s_add_nc_u64 s[4:5], s[4:5], 1
	s_wait_alu 0xfffe
	v_cmp_eq_u32_e32 vcc_lo, s4, v6
	global_load_u8 v18, v[18:19], off
	v_mov_b32_e32 v19, s10
	s_or_b32 s13, vcc_lo, s13
	s_wait_loadcnt 0x0
	v_and_b32_e32 v18, 0xffff, v18
	s_delay_alu instid0(VALU_DEP_1) | instskip(SKIP_1) | instid1(VALU_DEP_1)
	v_lshlrev_b64_e32 v[18:19], s0, v[18:19]
	s_add_nc_u64 s[0:1], s[0:1], 8
	v_or_b32_e32 v15, v19, v15
	s_delay_alu instid0(VALU_DEP_2)
	v_or_b32_e32 v14, v18, v14
	s_wait_alu 0xfffe
	s_and_not1_b32 exec_lo, exec_lo, s13
	s_cbranch_execnz .LBB1_307
; %bb.308:                              ;   in Loop: Header=BB1_280 Depth=1
	s_or_b32 exec_lo, exec_lo, s13
.LBB1_309:                              ;   in Loop: Header=BB1_280 Depth=1
	s_wait_alu 0xfffe
	s_or_b32 exec_lo, exec_lo, s12
	v_dual_mov_b32 v19, v17 :: v_dual_mov_b32 v18, v16
                                        ; implicit-def: $vgpr6
.LBB1_310:                              ;   in Loop: Header=BB1_280 Depth=1
	s_wait_alu 0xfffe
	s_or_saveexec_b32 s0, s11
	v_mov_b32_e32 v22, 0
	s_wait_alu 0xfffe
	s_xor_b32 exec_lo, exec_lo, s0
	s_cbranch_execz .LBB1_312
; %bb.311:                              ;   in Loop: Header=BB1_280 Depth=1
	global_load_b64 v[14:15], v[16:17], off
	v_add_nc_u32_e32 v22, -8, v6
.LBB1_312:                              ;   in Loop: Header=BB1_280 Depth=1
	s_or_b32 exec_lo, exec_lo, s0
	v_add_co_u32 v20, s0, v18, 8
	s_wait_alu 0xf1ff
	v_add_co_ci_u32_e64 v21, null, 0, v19, s0
	s_mov_b32 s0, exec_lo
	v_cmpx_gt_u32_e32 8, v22
	s_wait_alu 0xfffe
	s_xor_b32 s11, exec_lo, s0
	s_cbranch_execz .LBB1_318
; %bb.313:                              ;   in Loop: Header=BB1_280 Depth=1
	v_mov_b32_e32 v16, 0
	v_mov_b32_e32 v17, 0
	s_mov_b32 s12, exec_lo
	v_cmpx_ne_u32_e32 0, v22
	s_cbranch_execz .LBB1_317
; %bb.314:                              ;   in Loop: Header=BB1_280 Depth=1
	v_mov_b32_e32 v16, 0
	v_mov_b32_e32 v17, 0
	s_mov_b64 s[0:1], 0
	s_mov_b32 s13, 0
	s_mov_b64 s[4:5], 0
.LBB1_315:                              ;   Parent Loop BB1_280 Depth=1
                                        ; =>  This Inner Loop Header: Depth=2
	s_wait_alu 0xfffe
	v_add_co_u32 v20, vcc_lo, v18, s4
	s_wait_alu 0xfffd
	v_add_co_ci_u32_e64 v21, null, s5, v19, vcc_lo
	s_add_nc_u64 s[4:5], s[4:5], 1
	s_wait_alu 0xfffe
	v_cmp_eq_u32_e32 vcc_lo, s4, v22
	global_load_u8 v6, v[20:21], off
	v_mov_b32_e32 v21, s10
	s_or_b32 s13, vcc_lo, s13
	s_wait_loadcnt 0x0
	v_and_b32_e32 v20, 0xffff, v6
	s_delay_alu instid0(VALU_DEP_1) | instskip(SKIP_1) | instid1(VALU_DEP_1)
	v_lshlrev_b64_e32 v[20:21], s0, v[20:21]
	s_add_nc_u64 s[0:1], s[0:1], 8
	v_or_b32_e32 v17, v21, v17
	s_delay_alu instid0(VALU_DEP_2)
	v_or_b32_e32 v16, v20, v16
	s_wait_alu 0xfffe
	s_and_not1_b32 exec_lo, exec_lo, s13
	s_cbranch_execnz .LBB1_315
; %bb.316:                              ;   in Loop: Header=BB1_280 Depth=1
	s_or_b32 exec_lo, exec_lo, s13
.LBB1_317:                              ;   in Loop: Header=BB1_280 Depth=1
	s_wait_alu 0xfffe
	s_or_b32 exec_lo, exec_lo, s12
	v_dual_mov_b32 v21, v19 :: v_dual_mov_b32 v20, v18
                                        ; implicit-def: $vgpr22
.LBB1_318:                              ;   in Loop: Header=BB1_280 Depth=1
	s_wait_alu 0xfffe
	s_or_saveexec_b32 s0, s11
	v_mov_b32_e32 v6, 0
	s_wait_alu 0xfffe
	s_xor_b32 exec_lo, exec_lo, s0
	s_cbranch_execz .LBB1_320
; %bb.319:                              ;   in Loop: Header=BB1_280 Depth=1
	global_load_b64 v[16:17], v[18:19], off
	v_add_nc_u32_e32 v6, -8, v22
.LBB1_320:                              ;   in Loop: Header=BB1_280 Depth=1
	s_or_b32 exec_lo, exec_lo, s0
	v_add_co_u32 v22, s0, v20, 8
	s_wait_alu 0xf1ff
	v_add_co_ci_u32_e64 v23, null, 0, v21, s0
                                        ; implicit-def: $vgpr18_vgpr19
	s_mov_b32 s0, exec_lo
	v_cmpx_gt_u32_e32 8, v6
	s_wait_alu 0xfffe
	s_xor_b32 s11, exec_lo, s0
	s_cbranch_execz .LBB1_326
; %bb.321:                              ;   in Loop: Header=BB1_280 Depth=1
	v_mov_b32_e32 v18, 0
	v_mov_b32_e32 v19, 0
	s_mov_b32 s12, exec_lo
	v_cmpx_ne_u32_e32 0, v6
	s_cbranch_execz .LBB1_325
; %bb.322:                              ;   in Loop: Header=BB1_280 Depth=1
	v_mov_b32_e32 v18, 0
	v_mov_b32_e32 v19, 0
	s_mov_b64 s[0:1], 0
	s_mov_b32 s13, 0
	s_mov_b64 s[4:5], 0
.LBB1_323:                              ;   Parent Loop BB1_280 Depth=1
                                        ; =>  This Inner Loop Header: Depth=2
	s_wait_alu 0xfffe
	v_add_co_u32 v22, vcc_lo, v20, s4
	s_wait_alu 0xfffd
	v_add_co_ci_u32_e64 v23, null, s5, v21, vcc_lo
	s_add_nc_u64 s[4:5], s[4:5], 1
	s_wait_alu 0xfffe
	v_cmp_eq_u32_e32 vcc_lo, s4, v6
	global_load_u8 v22, v[22:23], off
	v_mov_b32_e32 v23, s10
	s_or_b32 s13, vcc_lo, s13
	s_wait_loadcnt 0x0
	v_and_b32_e32 v22, 0xffff, v22
	s_delay_alu instid0(VALU_DEP_1) | instskip(SKIP_1) | instid1(VALU_DEP_1)
	v_lshlrev_b64_e32 v[22:23], s0, v[22:23]
	s_add_nc_u64 s[0:1], s[0:1], 8
	v_or_b32_e32 v19, v23, v19
	s_delay_alu instid0(VALU_DEP_2)
	v_or_b32_e32 v18, v22, v18
	s_wait_alu 0xfffe
	s_and_not1_b32 exec_lo, exec_lo, s13
	s_cbranch_execnz .LBB1_323
; %bb.324:                              ;   in Loop: Header=BB1_280 Depth=1
	s_or_b32 exec_lo, exec_lo, s13
.LBB1_325:                              ;   in Loop: Header=BB1_280 Depth=1
	s_wait_alu 0xfffe
	s_or_b32 exec_lo, exec_lo, s12
	v_dual_mov_b32 v23, v21 :: v_dual_mov_b32 v22, v20
                                        ; implicit-def: $vgpr6
.LBB1_326:                              ;   in Loop: Header=BB1_280 Depth=1
	s_wait_alu 0xfffe
	s_or_saveexec_b32 s0, s11
	v_mov_b32_e32 v24, 0
	s_wait_alu 0xfffe
	s_xor_b32 exec_lo, exec_lo, s0
	s_cbranch_execz .LBB1_328
; %bb.327:                              ;   in Loop: Header=BB1_280 Depth=1
	global_load_b64 v[18:19], v[20:21], off
	v_add_nc_u32_e32 v24, -8, v6
.LBB1_328:                              ;   in Loop: Header=BB1_280 Depth=1
	s_or_b32 exec_lo, exec_lo, s0
	s_delay_alu instid0(SALU_CYCLE_1) | instskip(NEXT) | instid1(VALU_DEP_1)
	s_mov_b32 s0, exec_lo
	v_cmpx_gt_u32_e32 8, v24
	s_wait_alu 0xfffe
	s_xor_b32 s1, exec_lo, s0
	s_cbranch_execz .LBB1_334
; %bb.329:                              ;   in Loop: Header=BB1_280 Depth=1
	v_mov_b32_e32 v20, 0
	v_mov_b32_e32 v21, 0
	s_mov_b32 s11, exec_lo
	v_cmpx_ne_u32_e32 0, v24
	s_cbranch_execz .LBB1_333
; %bb.330:                              ;   in Loop: Header=BB1_280 Depth=1
	v_mov_b32_e32 v20, 0
	v_mov_b32_e32 v21, 0
	s_mov_b64 s[4:5], 0
	s_mov_b32 s12, 0
.LBB1_331:                              ;   Parent Loop BB1_280 Depth=1
                                        ; =>  This Inner Loop Header: Depth=2
	global_load_u8 v6, v[22:23], off
	v_dual_mov_b32 v31, s10 :: v_dual_add_nc_u32 v24, -1, v24
	v_add_co_u32 v22, vcc_lo, v22, 1
	s_wait_alu 0xfffd
	v_add_co_ci_u32_e64 v23, null, 0, v23, vcc_lo
	s_delay_alu instid0(VALU_DEP_3) | instskip(SKIP_4) | instid1(VALU_DEP_1)
	v_cmp_eq_u32_e64 s0, 0, v24
	s_wait_alu 0xfffe
	s_or_b32 s12, s0, s12
	s_wait_loadcnt 0x0
	v_and_b32_e32 v30, 0xffff, v6
	v_lshlrev_b64_e32 v[30:31], s4, v[30:31]
	s_add_nc_u64 s[4:5], s[4:5], 8
	s_delay_alu instid0(VALU_DEP_1) | instskip(NEXT) | instid1(VALU_DEP_2)
	v_or_b32_e32 v21, v31, v21
	v_or_b32_e32 v20, v30, v20
	s_wait_alu 0xfffe
	s_and_not1_b32 exec_lo, exec_lo, s12
	s_cbranch_execnz .LBB1_331
; %bb.332:                              ;   in Loop: Header=BB1_280 Depth=1
	s_or_b32 exec_lo, exec_lo, s12
.LBB1_333:                              ;   in Loop: Header=BB1_280 Depth=1
	s_wait_alu 0xfffe
	s_or_b32 exec_lo, exec_lo, s11
                                        ; implicit-def: $vgpr22_vgpr23
.LBB1_334:                              ;   in Loop: Header=BB1_280 Depth=1
	s_wait_alu 0xfffe
	s_and_not1_saveexec_b32 s0, s1
	s_cbranch_execz .LBB1_336
; %bb.335:                              ;   in Loop: Header=BB1_280 Depth=1
	global_load_b64 v[20:21], v[22:23], off
.LBB1_336:                              ;   in Loop: Header=BB1_280 Depth=1
	s_wait_alu 0xfffe
	s_or_b32 exec_lo, exec_lo, s0
	v_readfirstlane_b32 s0, v37
	v_mov_b32_e32 v30, 0
	v_mov_b32_e32 v31, 0
	s_wait_alu 0xf1ff
	s_delay_alu instid0(VALU_DEP_3)
	v_cmp_eq_u32_e64 s0, s0, v37
	s_and_saveexec_b32 s1, s0
	s_cbranch_execz .LBB1_342
; %bb.337:                              ;   in Loop: Header=BB1_280 Depth=1
	global_load_b64 v[24:25], v7, s[2:3] offset:24 scope:SCOPE_SYS
	s_wait_loadcnt 0x0
	global_inv scope:SCOPE_SYS
	s_clause 0x1
	global_load_b64 v[22:23], v7, s[2:3] offset:40
	global_load_b64 v[30:31], v7, s[2:3]
	s_mov_b32 s4, exec_lo
	s_wait_loadcnt 0x1
	v_and_b32_e32 v6, v23, v25
	v_and_b32_e32 v22, v22, v24
	s_delay_alu instid0(VALU_DEP_2) | instskip(NEXT) | instid1(VALU_DEP_2)
	v_mul_lo_u32 v6, 24, v6
	v_mul_lo_u32 v23, 0, v22
	v_mul_hi_u32 v32, 24, v22
	v_mul_lo_u32 v22, 24, v22
	s_delay_alu instid0(VALU_DEP_3) | instskip(SKIP_1) | instid1(VALU_DEP_2)
	v_add_nc_u32_e32 v6, v6, v23
	s_wait_loadcnt 0x0
	v_add_co_u32 v22, vcc_lo, v30, v22
	s_delay_alu instid0(VALU_DEP_2) | instskip(SKIP_1) | instid1(VALU_DEP_1)
	v_add_nc_u32_e32 v6, v6, v32
	s_wait_alu 0xfffd
	v_add_co_ci_u32_e64 v23, null, v31, v6, vcc_lo
	global_load_b64 v[22:23], v[22:23], off scope:SCOPE_SYS
	s_wait_loadcnt 0x0
	global_atomic_cmpswap_b64 v[30:31], v7, v[22:25], s[2:3] offset:24 th:TH_ATOMIC_RETURN scope:SCOPE_SYS
	s_wait_loadcnt 0x0
	global_inv scope:SCOPE_SYS
	v_cmpx_ne_u64_e64 v[30:31], v[24:25]
	s_cbranch_execz .LBB1_341
; %bb.338:                              ;   in Loop: Header=BB1_280 Depth=1
	s_mov_b32 s5, 0
.LBB1_339:                              ;   Parent Loop BB1_280 Depth=1
                                        ; =>  This Inner Loop Header: Depth=2
	s_sleep 1
	s_clause 0x1
	global_load_b64 v[22:23], v7, s[2:3] offset:40
	global_load_b64 v[32:33], v7, s[2:3]
	v_dual_mov_b32 v24, v30 :: v_dual_mov_b32 v25, v31
	s_wait_loadcnt 0x1
	s_delay_alu instid0(VALU_DEP_1) | instskip(NEXT) | instid1(VALU_DEP_2)
	v_and_b32_e32 v6, v22, v24
	v_and_b32_e32 v22, v23, v25
	s_wait_loadcnt 0x0
	s_delay_alu instid0(VALU_DEP_2) | instskip(NEXT) | instid1(VALU_DEP_1)
	v_mad_co_u64_u32 v[30:31], null, v6, 24, v[32:33]
	v_mov_b32_e32 v6, v31
	s_delay_alu instid0(VALU_DEP_1) | instskip(NEXT) | instid1(VALU_DEP_1)
	v_mad_co_u64_u32 v[22:23], null, v22, 24, v[6:7]
	v_mov_b32_e32 v31, v22
	global_load_b64 v[22:23], v[30:31], off scope:SCOPE_SYS
	s_wait_loadcnt 0x0
	global_atomic_cmpswap_b64 v[30:31], v7, v[22:25], s[2:3] offset:24 th:TH_ATOMIC_RETURN scope:SCOPE_SYS
	s_wait_loadcnt 0x0
	global_inv scope:SCOPE_SYS
	v_cmp_eq_u64_e32 vcc_lo, v[30:31], v[24:25]
	s_wait_alu 0xfffe
	s_or_b32 s5, vcc_lo, s5
	s_wait_alu 0xfffe
	s_and_not1_b32 exec_lo, exec_lo, s5
	s_cbranch_execnz .LBB1_339
; %bb.340:                              ;   in Loop: Header=BB1_280 Depth=1
	s_or_b32 exec_lo, exec_lo, s5
.LBB1_341:                              ;   in Loop: Header=BB1_280 Depth=1
	s_wait_alu 0xfffe
	s_or_b32 exec_lo, exec_lo, s4
.LBB1_342:                              ;   in Loop: Header=BB1_280 Depth=1
	s_wait_alu 0xfffe
	s_or_b32 exec_lo, exec_lo, s1
	s_clause 0x1
	global_load_b64 v[32:33], v7, s[2:3] offset:40
	global_load_b128 v[22:25], v7, s[2:3]
	v_readfirstlane_b32 s5, v31
	v_readfirstlane_b32 s4, v30
	s_mov_b32 s1, exec_lo
	s_wait_loadcnt 0x1
	s_wait_alu 0xf1ff
	v_and_b32_e32 v33, s5, v33
	v_and_b32_e32 v32, s4, v32
	s_delay_alu instid0(VALU_DEP_2) | instskip(NEXT) | instid1(VALU_DEP_2)
	v_mul_lo_u32 v6, 24, v33
	v_mul_lo_u32 v30, 0, v32
	v_mul_hi_u32 v31, 24, v32
	v_mul_lo_u32 v35, 24, v32
	s_delay_alu instid0(VALU_DEP_3) | instskip(SKIP_1) | instid1(VALU_DEP_2)
	v_add_nc_u32_e32 v6, v6, v30
	s_wait_loadcnt 0x0
	v_add_co_u32 v30, vcc_lo, v22, v35
	s_delay_alu instid0(VALU_DEP_2) | instskip(SKIP_1) | instid1(VALU_DEP_1)
	v_add_nc_u32_e32 v6, v6, v31
	s_wait_alu 0xfffd
	v_add_co_ci_u32_e64 v31, null, v23, v6, vcc_lo
	s_and_saveexec_b32 s11, s0
	s_cbranch_execz .LBB1_344
; %bb.343:                              ;   in Loop: Header=BB1_280 Depth=1
	s_wait_alu 0xfffe
	v_mov_b32_e32 v6, s1
	global_store_b128 v[30:31], v[6:9], off offset:8
.LBB1_344:                              ;   in Loop: Header=BB1_280 Depth=1
	s_wait_alu 0xfffe
	s_or_b32 exec_lo, exec_lo, s11
	v_cmp_gt_u64_e32 vcc_lo, 57, v[26:27]
	v_lshlrev_b64_e32 v[32:33], 12, v[32:33]
	v_and_b32_e32 v0, 0xffffff1f, v0
	v_lshl_add_u32 v35, v28, 2, 28
	s_wait_alu 0xfffd
	v_cndmask_b32_e32 v6, 0, v34, vcc_lo
	s_delay_alu instid0(VALU_DEP_4) | instskip(SKIP_2) | instid1(VALU_DEP_3)
	v_add_co_u32 v24, vcc_lo, v24, v32
	s_wait_alu 0xfffd
	v_add_co_ci_u32_e64 v25, null, v25, v33, vcc_lo
	v_or_b32_e32 v0, v0, v6
	s_delay_alu instid0(VALU_DEP_3) | instskip(NEXT) | instid1(VALU_DEP_3)
	v_readfirstlane_b32 s12, v24
	v_readfirstlane_b32 s13, v25
	s_delay_alu instid0(VALU_DEP_3)
	v_and_or_b32 v0, 0x1e0, v35, v0
	s_clause 0x3
	global_store_b128 v36, v[0:3], s[12:13]
	global_store_b128 v36, v[10:13], s[12:13] offset:16
	global_store_b128 v36, v[14:17], s[12:13] offset:32
	;; [unrolled: 1-line block ×3, first 2 shown]
	s_and_saveexec_b32 s1, s0
	s_cbranch_execz .LBB1_352
; %bb.345:                              ;   in Loop: Header=BB1_280 Depth=1
	s_clause 0x1
	global_load_b64 v[14:15], v7, s[2:3] offset:32 scope:SCOPE_SYS
	global_load_b64 v[0:1], v7, s[2:3] offset:40
	s_mov_b32 s11, exec_lo
	v_dual_mov_b32 v12, s4 :: v_dual_mov_b32 v13, s5
	s_wait_loadcnt 0x0
	v_and_b32_e32 v0, s4, v0
	v_and_b32_e32 v1, s5, v1
	s_delay_alu instid0(VALU_DEP_2) | instskip(NEXT) | instid1(VALU_DEP_2)
	v_mul_lo_u32 v2, 0, v0
	v_mul_lo_u32 v1, 24, v1
	v_mul_hi_u32 v3, 24, v0
	v_mul_lo_u32 v0, 24, v0
	s_delay_alu instid0(VALU_DEP_3) | instskip(NEXT) | instid1(VALU_DEP_2)
	v_add_nc_u32_e32 v1, v1, v2
	v_add_co_u32 v10, vcc_lo, v22, v0
	s_delay_alu instid0(VALU_DEP_2) | instskip(SKIP_1) | instid1(VALU_DEP_1)
	v_add_nc_u32_e32 v1, v1, v3
	s_wait_alu 0xfffd
	v_add_co_ci_u32_e64 v11, null, v23, v1, vcc_lo
	global_store_b64 v[10:11], v[14:15], off
	global_wb scope:SCOPE_SYS
	s_wait_storecnt 0x0
	global_atomic_cmpswap_b64 v[2:3], v7, v[12:15], s[2:3] offset:32 th:TH_ATOMIC_RETURN scope:SCOPE_SYS
	s_wait_loadcnt 0x0
	v_cmpx_ne_u64_e64 v[2:3], v[14:15]
	s_cbranch_execz .LBB1_348
; %bb.346:                              ;   in Loop: Header=BB1_280 Depth=1
	s_mov_b32 s12, 0
.LBB1_347:                              ;   Parent Loop BB1_280 Depth=1
                                        ; =>  This Inner Loop Header: Depth=2
	v_dual_mov_b32 v0, s4 :: v_dual_mov_b32 v1, s5
	s_sleep 1
	global_store_b64 v[10:11], v[2:3], off
	global_wb scope:SCOPE_SYS
	s_wait_storecnt 0x0
	global_atomic_cmpswap_b64 v[0:1], v7, v[0:3], s[2:3] offset:32 th:TH_ATOMIC_RETURN scope:SCOPE_SYS
	s_wait_loadcnt 0x0
	v_cmp_eq_u64_e32 vcc_lo, v[0:1], v[2:3]
	v_dual_mov_b32 v3, v1 :: v_dual_mov_b32 v2, v0
	s_wait_alu 0xfffe
	s_or_b32 s12, vcc_lo, s12
	s_wait_alu 0xfffe
	s_and_not1_b32 exec_lo, exec_lo, s12
	s_cbranch_execnz .LBB1_347
.LBB1_348:                              ;   in Loop: Header=BB1_280 Depth=1
	s_wait_alu 0xfffe
	s_or_b32 exec_lo, exec_lo, s11
	global_load_b64 v[0:1], v7, s[2:3] offset:16
	s_mov_b32 s12, exec_lo
	s_mov_b32 s11, exec_lo
	s_wait_alu 0xfffe
	v_mbcnt_lo_u32_b32 v2, s12, 0
	s_delay_alu instid0(VALU_DEP_1)
	v_cmpx_eq_u32_e32 0, v2
	s_cbranch_execz .LBB1_350
; %bb.349:                              ;   in Loop: Header=BB1_280 Depth=1
	s_bcnt1_i32_b32 s12, s12
	s_wait_alu 0xfffe
	v_mov_b32_e32 v6, s12
	global_wb scope:SCOPE_SYS
	s_wait_loadcnt 0x0
	s_wait_storecnt 0x0
	global_atomic_add_u64 v[0:1], v[6:7], off offset:8 scope:SCOPE_SYS
.LBB1_350:                              ;   in Loop: Header=BB1_280 Depth=1
	s_or_b32 exec_lo, exec_lo, s11
	s_wait_loadcnt 0x0
	global_load_b64 v[2:3], v[0:1], off offset:16
	s_wait_loadcnt 0x0
	v_cmp_eq_u64_e32 vcc_lo, 0, v[2:3]
	s_cbranch_vccnz .LBB1_352
; %bb.351:                              ;   in Loop: Header=BB1_280 Depth=1
	global_load_b32 v6, v[0:1], off offset:24
	s_wait_loadcnt 0x0
	v_readfirstlane_b32 s11, v6
	global_wb scope:SCOPE_SYS
	s_wait_storecnt 0x0
	global_store_b64 v[2:3], v[6:7], off scope:SCOPE_SYS
	s_and_b32 m0, s11, 0xffffff
	s_sendmsg sendmsg(MSG_INTERRUPT)
.LBB1_352:                              ;   in Loop: Header=BB1_280 Depth=1
	s_wait_alu 0xfffe
	s_or_b32 exec_lo, exec_lo, s1
	v_add_co_u32 v0, vcc_lo, v24, v36
	s_wait_alu 0xfffd
	v_add_co_ci_u32_e64 v1, null, 0, v25, vcc_lo
	s_branch .LBB1_356
.LBB1_353:                              ;   in Loop: Header=BB1_356 Depth=2
	s_wait_alu 0xfffe
	s_or_b32 exec_lo, exec_lo, s1
	s_delay_alu instid0(VALU_DEP_1)
	v_readfirstlane_b32 s1, v2
	s_cmp_eq_u32 s1, 0
	s_cbranch_scc1 .LBB1_355
; %bb.354:                              ;   in Loop: Header=BB1_356 Depth=2
	s_sleep 1
	s_cbranch_execnz .LBB1_356
	s_branch .LBB1_358
.LBB1_355:                              ;   in Loop: Header=BB1_280 Depth=1
	s_branch .LBB1_358
.LBB1_356:                              ;   Parent Loop BB1_280 Depth=1
                                        ; =>  This Inner Loop Header: Depth=2
	v_mov_b32_e32 v2, 1
	s_and_saveexec_b32 s1, s0
	s_cbranch_execz .LBB1_353
; %bb.357:                              ;   in Loop: Header=BB1_356 Depth=2
	global_load_b32 v2, v[30:31], off offset:20 scope:SCOPE_SYS
	s_wait_loadcnt 0x0
	global_inv scope:SCOPE_SYS
	v_and_b32_e32 v2, 1, v2
	s_branch .LBB1_353
.LBB1_358:                              ;   in Loop: Header=BB1_280 Depth=1
	global_load_b64 v[0:1], v[0:1], off
	s_and_saveexec_b32 s11, s0
	s_cbranch_execz .LBB1_279
; %bb.359:                              ;   in Loop: Header=BB1_280 Depth=1
	s_clause 0x2
	global_load_b64 v[2:3], v7, s[2:3] offset:40
	global_load_b64 v[14:15], v7, s[2:3] offset:24 scope:SCOPE_SYS
	global_load_b64 v[10:11], v7, s[2:3]
	s_wait_loadcnt 0x2
	v_readfirstlane_b32 s12, v2
	v_readfirstlane_b32 s13, v3
	s_add_nc_u64 s[0:1], s[12:13], 1
	s_wait_alu 0xfffe
	s_add_nc_u64 s[4:5], s[0:1], s[4:5]
	s_wait_alu 0xfffe
	s_cmp_eq_u64 s[4:5], 0
	s_cselect_b32 s1, s1, s5
	s_cselect_b32 s0, s0, s4
	s_wait_alu 0xfffe
	v_dual_mov_b32 v13, s1 :: v_dual_mov_b32 v12, s0
	s_and_b64 s[4:5], s[0:1], s[12:13]
	s_wait_alu 0xfffe
	s_mul_u64 s[4:5], s[4:5], 24
	s_wait_loadcnt 0x0
	s_wait_alu 0xfffe
	v_add_co_u32 v2, vcc_lo, v10, s4
	s_wait_alu 0xfffd
	v_add_co_ci_u32_e64 v3, null, s5, v11, vcc_lo
	global_store_b64 v[2:3], v[14:15], off
	global_wb scope:SCOPE_SYS
	s_wait_storecnt 0x0
	global_atomic_cmpswap_b64 v[12:13], v7, v[12:15], s[2:3] offset:24 th:TH_ATOMIC_RETURN scope:SCOPE_SYS
	s_wait_loadcnt 0x0
	v_cmp_ne_u64_e32 vcc_lo, v[12:13], v[14:15]
	s_and_b32 exec_lo, exec_lo, vcc_lo
	s_cbranch_execz .LBB1_279
; %bb.360:                              ;   in Loop: Header=BB1_280 Depth=1
	s_mov_b32 s4, 0
.LBB1_361:                              ;   Parent Loop BB1_280 Depth=1
                                        ; =>  This Inner Loop Header: Depth=2
	v_dual_mov_b32 v10, s0 :: v_dual_mov_b32 v11, s1
	s_sleep 1
	global_store_b64 v[2:3], v[12:13], off
	global_wb scope:SCOPE_SYS
	s_wait_storecnt 0x0
	global_atomic_cmpswap_b64 v[10:11], v7, v[10:13], s[2:3] offset:24 th:TH_ATOMIC_RETURN scope:SCOPE_SYS
	s_wait_loadcnt 0x0
	v_cmp_eq_u64_e32 vcc_lo, v[10:11], v[12:13]
	v_dual_mov_b32 v13, v11 :: v_dual_mov_b32 v12, v10
	s_wait_alu 0xfffe
	s_or_b32 s4, vcc_lo, s4
	s_wait_alu 0xfffe
	s_and_not1_b32 exec_lo, exec_lo, s4
	s_cbranch_execnz .LBB1_361
	s_branch .LBB1_279
.LBB1_362:
	s_or_b32 exec_lo, exec_lo, s7
                                        ; implicit-def: $vgpr36
                                        ; implicit-def: $vgpr37
.LBB1_363:
	s_wait_alu 0xfffe
	s_and_not1_saveexec_b32 s6, s6
	s_cbranch_execz .LBB1_391
; %bb.364:
	v_readfirstlane_b32 s0, v37
	v_mov_b32_e32 v8, 0
	v_mov_b32_e32 v9, 0
	s_wait_alu 0xf1ff
	s_delay_alu instid0(VALU_DEP_3)
	v_cmp_eq_u32_e64 s0, s0, v37
	s_and_saveexec_b32 s1, s0
	s_cbranch_execz .LBB1_370
; %bb.365:
	v_mov_b32_e32 v2, 0
	s_mov_b32 s4, exec_lo
	global_load_b64 v[5:6], v2, s[2:3] offset:24 scope:SCOPE_SYS
	s_wait_loadcnt 0x0
	global_inv scope:SCOPE_SYS
	s_clause 0x1
	global_load_b64 v[3:4], v2, s[2:3] offset:40
	global_load_b64 v[7:8], v2, s[2:3]
	s_wait_loadcnt 0x1
	v_and_b32_e32 v4, v4, v6
	v_and_b32_e32 v3, v3, v5
	s_delay_alu instid0(VALU_DEP_2) | instskip(NEXT) | instid1(VALU_DEP_2)
	v_mul_lo_u32 v4, 24, v4
	v_mul_lo_u32 v9, 0, v3
	v_mul_hi_u32 v10, 24, v3
	v_mul_lo_u32 v3, 24, v3
	s_delay_alu instid0(VALU_DEP_3) | instskip(SKIP_1) | instid1(VALU_DEP_2)
	v_add_nc_u32_e32 v4, v4, v9
	s_wait_loadcnt 0x0
	v_add_co_u32 v3, vcc_lo, v7, v3
	s_delay_alu instid0(VALU_DEP_2) | instskip(SKIP_1) | instid1(VALU_DEP_1)
	v_add_nc_u32_e32 v4, v4, v10
	s_wait_alu 0xfffd
	v_add_co_ci_u32_e64 v4, null, v8, v4, vcc_lo
	global_load_b64 v[3:4], v[3:4], off scope:SCOPE_SYS
	s_wait_loadcnt 0x0
	global_atomic_cmpswap_b64 v[8:9], v2, v[3:6], s[2:3] offset:24 th:TH_ATOMIC_RETURN scope:SCOPE_SYS
	s_wait_loadcnt 0x0
	global_inv scope:SCOPE_SYS
	v_cmpx_ne_u64_e64 v[8:9], v[5:6]
	s_cbranch_execz .LBB1_369
; %bb.366:
	s_mov_b32 s5, 0
.LBB1_367:                              ; =>This Inner Loop Header: Depth=1
	s_sleep 1
	s_clause 0x1
	global_load_b64 v[3:4], v2, s[2:3] offset:40
	global_load_b64 v[10:11], v2, s[2:3]
	v_dual_mov_b32 v5, v8 :: v_dual_mov_b32 v6, v9
	s_wait_loadcnt 0x1
	s_delay_alu instid0(VALU_DEP_1) | instskip(NEXT) | instid1(VALU_DEP_2)
	v_and_b32_e32 v3, v3, v5
	v_and_b32_e32 v4, v4, v6
	s_wait_loadcnt 0x0
	s_delay_alu instid0(VALU_DEP_2) | instskip(NEXT) | instid1(VALU_DEP_1)
	v_mad_co_u64_u32 v[7:8], null, v3, 24, v[10:11]
	v_mov_b32_e32 v3, v8
	s_delay_alu instid0(VALU_DEP_1) | instskip(NEXT) | instid1(VALU_DEP_1)
	v_mad_co_u64_u32 v[3:4], null, v4, 24, v[3:4]
	v_mov_b32_e32 v8, v3
	global_load_b64 v[3:4], v[7:8], off scope:SCOPE_SYS
	s_wait_loadcnt 0x0
	global_atomic_cmpswap_b64 v[8:9], v2, v[3:6], s[2:3] offset:24 th:TH_ATOMIC_RETURN scope:SCOPE_SYS
	s_wait_loadcnt 0x0
	global_inv scope:SCOPE_SYS
	v_cmp_eq_u64_e32 vcc_lo, v[8:9], v[5:6]
	s_wait_alu 0xfffe
	s_or_b32 s5, vcc_lo, s5
	s_wait_alu 0xfffe
	s_and_not1_b32 exec_lo, exec_lo, s5
	s_cbranch_execnz .LBB1_367
; %bb.368:
	s_or_b32 exec_lo, exec_lo, s5
.LBB1_369:
	s_wait_alu 0xfffe
	s_or_b32 exec_lo, exec_lo, s4
.LBB1_370:
	s_wait_alu 0xfffe
	s_or_b32 exec_lo, exec_lo, s1
	v_readfirstlane_b32 s5, v9
	v_mov_b32_e32 v2, 0
	v_readfirstlane_b32 s4, v8
	s_mov_b32 s1, exec_lo
	s_clause 0x1
	global_load_b64 v[10:11], v2, s[2:3] offset:40
	global_load_b128 v[4:7], v2, s[2:3]
	s_wait_loadcnt 0x1
	s_wait_alu 0xf1ff
	v_and_b32_e32 v11, s5, v11
	v_and_b32_e32 v10, s4, v10
	s_delay_alu instid0(VALU_DEP_2) | instskip(NEXT) | instid1(VALU_DEP_2)
	v_mul_lo_u32 v3, 24, v11
	v_mul_lo_u32 v8, 0, v10
	v_mul_hi_u32 v9, 24, v10
	v_mul_lo_u32 v12, 24, v10
	s_delay_alu instid0(VALU_DEP_3) | instskip(SKIP_1) | instid1(VALU_DEP_2)
	v_add_nc_u32_e32 v3, v3, v8
	s_wait_loadcnt 0x0
	v_add_co_u32 v8, vcc_lo, v4, v12
	s_delay_alu instid0(VALU_DEP_2) | instskip(SKIP_1) | instid1(VALU_DEP_1)
	v_add_nc_u32_e32 v3, v3, v9
	s_wait_alu 0xfffd
	v_add_co_ci_u32_e64 v9, null, v5, v3, vcc_lo
	s_and_saveexec_b32 s7, s0
	s_cbranch_execz .LBB1_372
; %bb.371:
	s_wait_alu 0xfffe
	v_dual_mov_b32 v12, s1 :: v_dual_mov_b32 v13, v2
	v_dual_mov_b32 v14, 2 :: v_dual_mov_b32 v15, 1
	global_store_b128 v[8:9], v[12:15], off offset:8
.LBB1_372:
	s_wait_alu 0xfffe
	s_or_b32 exec_lo, exec_lo, s7
	v_lshlrev_b64_e32 v[10:11], 12, v[10:11]
	s_mov_b32 s12, 0
	v_and_or_b32 v0, 0xffffff1f, v0, 32
	s_wait_alu 0xfffe
	s_mov_b32 s13, s12
	s_mov_b32 s14, s12
	;; [unrolled: 1-line block ×3, first 2 shown]
	v_add_co_u32 v6, vcc_lo, v6, v10
	s_wait_alu 0xfffd
	v_add_co_ci_u32_e64 v7, null, v7, v11, vcc_lo
	v_dual_mov_b32 v3, v2 :: v_dual_mov_b32 v10, s12
	s_delay_alu instid0(VALU_DEP_3) | instskip(SKIP_1) | instid1(VALU_DEP_4)
	v_readfirstlane_b32 s10, v6
	v_add_co_u32 v6, vcc_lo, v6, v36
	v_readfirstlane_b32 s11, v7
	s_wait_alu 0xfffd
	v_add_co_ci_u32_e64 v7, null, 0, v7, vcc_lo
	s_wait_alu 0xfffe
	v_dual_mov_b32 v11, s13 :: v_dual_mov_b32 v12, s14
	v_mov_b32_e32 v13, s15
	s_clause 0x3
	global_store_b128 v36, v[0:3], s[10:11]
	global_store_b128 v36, v[10:13], s[10:11] offset:16
	global_store_b128 v36, v[10:13], s[10:11] offset:32
	;; [unrolled: 1-line block ×3, first 2 shown]
	s_and_saveexec_b32 s1, s0
	s_cbranch_execz .LBB1_380
; %bb.373:
	v_mov_b32_e32 v10, 0
	s_mov_b32 s7, exec_lo
	s_clause 0x1
	global_load_b64 v[13:14], v10, s[2:3] offset:32 scope:SCOPE_SYS
	global_load_b64 v[0:1], v10, s[2:3] offset:40
	v_dual_mov_b32 v11, s4 :: v_dual_mov_b32 v12, s5
	s_wait_loadcnt 0x0
	v_and_b32_e32 v1, s5, v1
	v_and_b32_e32 v0, s4, v0
	s_delay_alu instid0(VALU_DEP_2) | instskip(NEXT) | instid1(VALU_DEP_2)
	v_mul_lo_u32 v1, 24, v1
	v_mul_lo_u32 v2, 0, v0
	v_mul_hi_u32 v3, 24, v0
	v_mul_lo_u32 v0, 24, v0
	s_delay_alu instid0(VALU_DEP_3) | instskip(NEXT) | instid1(VALU_DEP_2)
	v_add_nc_u32_e32 v1, v1, v2
	v_add_co_u32 v4, vcc_lo, v4, v0
	s_delay_alu instid0(VALU_DEP_2) | instskip(SKIP_1) | instid1(VALU_DEP_1)
	v_add_nc_u32_e32 v1, v1, v3
	s_wait_alu 0xfffd
	v_add_co_ci_u32_e64 v5, null, v5, v1, vcc_lo
	global_store_b64 v[4:5], v[13:14], off
	global_wb scope:SCOPE_SYS
	s_wait_storecnt 0x0
	global_atomic_cmpswap_b64 v[2:3], v10, v[11:14], s[2:3] offset:32 th:TH_ATOMIC_RETURN scope:SCOPE_SYS
	s_wait_loadcnt 0x0
	v_cmpx_ne_u64_e64 v[2:3], v[13:14]
	s_cbranch_execz .LBB1_376
; %bb.374:
	s_mov_b32 s10, 0
.LBB1_375:                              ; =>This Inner Loop Header: Depth=1
	v_dual_mov_b32 v0, s4 :: v_dual_mov_b32 v1, s5
	s_sleep 1
	global_store_b64 v[4:5], v[2:3], off
	global_wb scope:SCOPE_SYS
	s_wait_storecnt 0x0
	global_atomic_cmpswap_b64 v[0:1], v10, v[0:3], s[2:3] offset:32 th:TH_ATOMIC_RETURN scope:SCOPE_SYS
	s_wait_loadcnt 0x0
	v_cmp_eq_u64_e32 vcc_lo, v[0:1], v[2:3]
	v_dual_mov_b32 v3, v1 :: v_dual_mov_b32 v2, v0
	s_wait_alu 0xfffe
	s_or_b32 s10, vcc_lo, s10
	s_wait_alu 0xfffe
	s_and_not1_b32 exec_lo, exec_lo, s10
	s_cbranch_execnz .LBB1_375
.LBB1_376:
	s_wait_alu 0xfffe
	s_or_b32 exec_lo, exec_lo, s7
	v_mov_b32_e32 v3, 0
	s_mov_b32 s10, exec_lo
	s_mov_b32 s7, exec_lo
	s_wait_alu 0xfffe
	v_mbcnt_lo_u32_b32 v2, s10, 0
	global_load_b64 v[0:1], v3, s[2:3] offset:16
	v_cmpx_eq_u32_e32 0, v2
	s_cbranch_execz .LBB1_378
; %bb.377:
	s_bcnt1_i32_b32 s10, s10
	s_wait_alu 0xfffe
	v_mov_b32_e32 v2, s10
	global_wb scope:SCOPE_SYS
	s_wait_loadcnt 0x0
	s_wait_storecnt 0x0
	global_atomic_add_u64 v[0:1], v[2:3], off offset:8 scope:SCOPE_SYS
.LBB1_378:
	s_or_b32 exec_lo, exec_lo, s7
	s_wait_loadcnt 0x0
	global_load_b64 v[2:3], v[0:1], off offset:16
	s_wait_loadcnt 0x0
	v_cmp_eq_u64_e32 vcc_lo, 0, v[2:3]
	s_cbranch_vccnz .LBB1_380
; %bb.379:
	global_load_b32 v0, v[0:1], off offset:24
	v_mov_b32_e32 v1, 0
	s_wait_loadcnt 0x0
	v_readfirstlane_b32 s7, v0
	global_wb scope:SCOPE_SYS
	s_wait_storecnt 0x0
	global_store_b64 v[2:3], v[0:1], off scope:SCOPE_SYS
	s_and_b32 m0, s7, 0xffffff
	s_sendmsg sendmsg(MSG_INTERRUPT)
.LBB1_380:
	s_wait_alu 0xfffe
	s_or_b32 exec_lo, exec_lo, s1
	s_branch .LBB1_384
.LBB1_381:                              ;   in Loop: Header=BB1_384 Depth=1
	s_wait_alu 0xfffe
	s_or_b32 exec_lo, exec_lo, s1
	s_delay_alu instid0(VALU_DEP_1)
	v_readfirstlane_b32 s1, v0
	s_cmp_eq_u32 s1, 0
	s_cbranch_scc1 .LBB1_383
; %bb.382:                              ;   in Loop: Header=BB1_384 Depth=1
	s_sleep 1
	s_cbranch_execnz .LBB1_384
	s_branch .LBB1_386
.LBB1_383:
	s_branch .LBB1_386
.LBB1_384:                              ; =>This Inner Loop Header: Depth=1
	v_mov_b32_e32 v0, 1
	s_and_saveexec_b32 s1, s0
	s_cbranch_execz .LBB1_381
; %bb.385:                              ;   in Loop: Header=BB1_384 Depth=1
	global_load_b32 v0, v[8:9], off offset:20 scope:SCOPE_SYS
	s_wait_loadcnt 0x0
	global_inv scope:SCOPE_SYS
	v_and_b32_e32 v0, 1, v0
	s_branch .LBB1_381
.LBB1_386:
	global_load_b64 v[0:1], v[6:7], off
	s_and_saveexec_b32 s7, s0
	s_cbranch_execz .LBB1_390
; %bb.387:
	v_mov_b32_e32 v8, 0
	s_clause 0x2
	global_load_b64 v[2:3], v8, s[2:3] offset:40
	global_load_b64 v[11:12], v8, s[2:3] offset:24 scope:SCOPE_SYS
	global_load_b64 v[4:5], v8, s[2:3]
	s_wait_loadcnt 0x2
	v_readfirstlane_b32 s10, v2
	v_readfirstlane_b32 s11, v3
	s_add_nc_u64 s[0:1], s[10:11], 1
	s_wait_alu 0xfffe
	s_add_nc_u64 s[4:5], s[0:1], s[4:5]
	s_wait_alu 0xfffe
	s_cmp_eq_u64 s[4:5], 0
	s_cselect_b32 s1, s1, s5
	s_cselect_b32 s0, s0, s4
	s_wait_alu 0xfffe
	v_mov_b32_e32 v10, s1
	s_and_b64 s[4:5], s[0:1], s[10:11]
	v_mov_b32_e32 v9, s0
	s_wait_alu 0xfffe
	s_mul_u64 s[4:5], s[4:5], 24
	s_wait_loadcnt 0x0
	s_wait_alu 0xfffe
	v_add_co_u32 v6, vcc_lo, v4, s4
	s_wait_alu 0xfffd
	v_add_co_ci_u32_e64 v7, null, s5, v5, vcc_lo
	global_store_b64 v[6:7], v[11:12], off
	global_wb scope:SCOPE_SYS
	s_wait_storecnt 0x0
	global_atomic_cmpswap_b64 v[4:5], v8, v[9:12], s[2:3] offset:24 th:TH_ATOMIC_RETURN scope:SCOPE_SYS
	s_wait_loadcnt 0x0
	v_cmp_ne_u64_e32 vcc_lo, v[4:5], v[11:12]
	s_and_b32 exec_lo, exec_lo, vcc_lo
	s_cbranch_execz .LBB1_390
; %bb.388:
	s_mov_b32 s4, 0
.LBB1_389:                              ; =>This Inner Loop Header: Depth=1
	v_dual_mov_b32 v2, s0 :: v_dual_mov_b32 v3, s1
	s_sleep 1
	global_store_b64 v[6:7], v[4:5], off
	global_wb scope:SCOPE_SYS
	s_wait_storecnt 0x0
	global_atomic_cmpswap_b64 v[2:3], v8, v[2:5], s[2:3] offset:24 th:TH_ATOMIC_RETURN scope:SCOPE_SYS
	s_wait_loadcnt 0x0
	v_cmp_eq_u64_e32 vcc_lo, v[2:3], v[4:5]
	v_dual_mov_b32 v5, v3 :: v_dual_mov_b32 v4, v2
	s_wait_alu 0xfffe
	s_or_b32 s4, vcc_lo, s4
	s_wait_alu 0xfffe
	s_and_not1_b32 exec_lo, exec_lo, s4
	s_cbranch_execnz .LBB1_389
.LBB1_390:
	s_wait_alu 0xfffe
	s_or_b32 exec_lo, exec_lo, s7
.LBB1_391:
	s_wait_alu 0xfffe
	s_or_b32 exec_lo, exec_lo, s6
	s_getpc_b64 s[0:1]
	s_wait_alu 0xfffe
	s_sext_i32_i16 s1, s1
	s_add_co_u32 s0, s0, .str.3@rel32@lo+12
	s_wait_alu 0xfffe
	s_add_co_ci_u32 s1, s1, .str.3@rel32@hi+24
	s_getpc_b64 s[2:3]
	s_wait_alu 0xfffe
	s_sext_i32_i16 s3, s3
	s_add_co_u32 s2, s2, .str.3@rel32@lo+40
	s_wait_alu 0xfffe
	s_add_co_ci_u32 s3, s3, .str.3@rel32@hi+52
	s_sub_co_i32 s4, s2, s0
	s_getpc_b64 s[2:3]
	s_wait_alu 0xfffe
	s_sext_i32_i16 s3, s3
	s_add_co_u32 s2, s2, __ockl_fprintf_append_string_n@rel32@lo+12
	s_wait_alu 0xfffe
	s_add_co_ci_u32 s3, s3, __ockl_fprintf_append_string_n@rel32@hi+24
	s_ashr_i32 s5, s4, 31
	v_dual_mov_b32 v2, s0 :: v_dual_mov_b32 v3, s1
	s_wait_alu 0xfffe
	v_dual_mov_b32 v4, s4 :: v_dual_mov_b32 v5, s5
	v_mov_b32_e32 v6, 1
	s_swappc_b64 s[30:31], s[2:3]
	s_trap 2
.Lfunc_end1:
	.size	__assert_fail, .Lfunc_end1-__assert_fail
                                        ; -- End function
	.set .L__assert_fail.num_vgpr, max(49, .L__ockl_fprintf_append_string_n.num_vgpr)
	.set .L__assert_fail.num_agpr, max(0, .L__ockl_fprintf_append_string_n.num_agpr)
	.set .L__assert_fail.numbered_sgpr, max(34, .L__ockl_fprintf_append_string_n.numbered_sgpr)
	.set .L__assert_fail.num_named_barrier, max(0, .L__ockl_fprintf_append_string_n.num_named_barrier)
	.set .L__assert_fail.private_seg_size, 64+max(.L__ockl_fprintf_append_string_n.private_seg_size)
	.set .L__assert_fail.uses_vcc, or(1, .L__ockl_fprintf_append_string_n.uses_vcc)
	.set .L__assert_fail.uses_flat_scratch, or(1, .L__ockl_fprintf_append_string_n.uses_flat_scratch)
	.set .L__assert_fail.has_dyn_sized_stack, or(0, .L__ockl_fprintf_append_string_n.has_dyn_sized_stack)
	.set .L__assert_fail.has_recursion, or(0, .L__ockl_fprintf_append_string_n.has_recursion)
	.set .L__assert_fail.has_indirect_call, or(0, .L__ockl_fprintf_append_string_n.has_indirect_call)
	.section	.AMDGPU.csdata,"",@progbits
; Function info:
; codeLenInByte = 18504
; TotalNumSgprs: 36
; NumVgprs: 49
; ScratchSize: 64
; MemoryBound: 0
	.text
	.p2align	2                               ; -- Begin function _ZN12_GLOBAL__N_17runRingI14__hip_fp8_e5m28FuncProdIS1_E11ProtoSimpleILi2ELi2ELi0ELi1ELi0ELi0EELi0ELi0ELi1ELi0EEEviiP15ncclDevWorkColl
	.type	_ZN12_GLOBAL__N_17runRingI14__hip_fp8_e5m28FuncProdIS1_E11ProtoSimpleILi2ELi2ELi0ELi1ELi0ELi0EELi0ELi0ELi1ELi0EEEviiP15ncclDevWorkColl,@function
_ZN12_GLOBAL__N_17runRingI14__hip_fp8_e5m28FuncProdIS1_E11ProtoSimpleILi2ELi2ELi0ELi1ELi0ELi0EELi0ELi0ELi1ELi0EEEviiP15ncclDevWorkColl: ; @_ZN12_GLOBAL__N_17runRingI14__hip_fp8_e5m28FuncProdIS1_E11ProtoSimpleILi2ELi2ELi0ELi1ELi0ELi0EELi0ELi0ELi1ELi0EEEviiP15ncclDevWorkColl
; %bb.0:
	s_wait_loadcnt_dscnt 0x0
	s_wait_expcnt 0x0
	s_wait_samplecnt 0x0
	s_wait_bvhcnt 0x0
	s_wait_kmcnt 0x0
	s_mov_b32 s93, s33
	s_mov_b32 s33, s32
	s_or_saveexec_b32 s0, -1
	scratch_store_b32 off, v90, s33 offset:104 ; 4-byte Folded Spill
	s_wait_alu 0xfffe
	s_mov_b32 exec_lo, s0
	s_addk_co_i32 s32, 0x70
	s_clause 0x19
	scratch_store_b32 off, v40, s33 offset:100
	; meta instruction
	scratch_store_b32 off, v41, s33 offset:96
	; meta instruction
	;; [unrolled: 2-line block ×25, first 2 shown]
	scratch_store_b32 off, v89, s33
	v_writelane_b32 v90, s30, 0
	v_writelane_b32 v90, s31, 1
	s_trap 2
	flat_load_b32 v7, v[2:3]
	ds_load_b32 v6, v0
	s_mov_b32 s0, exec_lo
                                        ; implicit-def: $vgpr28_vgpr29
                                        ; implicit-def: $vgpr14_vgpr15
                                        ; implicit-def: $vgpr4_vgpr5
	s_wait_dscnt 0x0
	v_readfirstlane_b32 s40, v6
	s_wait_loadcnt 0x0
	v_and_b32_e32 v8, 0xff, v7
	s_delay_alu instid0(VALU_DEP_1)
	v_cmpx_ne_u32_e64 v6, v8
	s_wait_alu 0xfffe
	s_xor_b32 s0, exec_lo, s0
	s_cbranch_execz .LBB2_6
; %bb.1:
	v_bfe_u32 v9, v7, 8, 8
	v_not_b32_e32 v8, v8
	s_mov_b32 s1, exec_lo
                                        ; implicit-def: $vgpr28_vgpr29
                                        ; implicit-def: $vgpr14_vgpr15
                                        ; implicit-def: $vgpr4_vgpr5
	s_delay_alu instid0(VALU_DEP_2)
	v_cmpx_ne_u32_e64 v6, v9
	s_wait_alu 0xfffe
	s_xor_b32 s1, exec_lo, s1
	s_cbranch_execz .LBB2_3
; %bb.2:
	s_clause 0x1
	flat_load_b128 v[9:12], v[2:3] offset:72
	flat_load_b64 v[4:5], v[2:3] offset:96
	v_add_nc_u32_e32 v6, v6, v8
                                        ; implicit-def: $vgpr8
	s_wait_loadcnt_dscnt 0x0
	v_lshrrev_b64 v[28:29], 12, v[4:5]
	v_dual_mov_b32 v4, v11 :: v_dual_mov_b32 v5, v12
	s_delay_alu instid0(VALU_DEP_3) | instskip(SKIP_2) | instid1(VALU_DEP_3)
	v_ashrrev_i32_e32 v7, 31, v6
	v_mad_co_u64_u32 v[14:15], null, v11, v6, v[9:10]
	v_mul_lo_u32 v6, v12, v6
                                        ; implicit-def: $vgpr9
	v_mul_lo_u32 v7, v11, v7
	s_delay_alu instid0(VALU_DEP_1)
	v_add3_u32 v15, v6, v15, v7
.LBB2_3:
	s_wait_alu 0xfffe
	s_and_not1_saveexec_b32 s1, s1
	s_cbranch_execz .LBB2_5
; %bb.4:
	s_clause 0x1
	flat_load_b128 v[10:13], v[2:3] offset:72
	flat_load_b128 v[4:7], v[2:3] offset:88
	s_wait_loadcnt_dscnt 0x0
	v_add_nc_u32_e32 v6, v9, v8
	s_delay_alu instid0(VALU_DEP_1) | instskip(NEXT) | instid1(VALU_DEP_1)
	v_ashrrev_i32_e32 v8, 31, v6
	v_mul_lo_u32 v8, v12, v8
	v_mad_co_u64_u32 v[14:15], null, v12, v6, v[10:11]
	v_mul_lo_u32 v6, v13, v6
	v_lshrrev_b32_e32 v28, 1, v7
	s_delay_alu instid0(VALU_DEP_2)
	v_add3_u32 v15, v6, v15, v8
.LBB2_5:
	s_wait_alu 0xfffe
	s_or_b32 exec_lo, exec_lo, s1
.LBB2_6:
	s_wait_alu 0xfffe
	s_and_not1_saveexec_b32 s0, s0
	s_cbranch_execz .LBB2_8
; %bb.7:
	s_clause 0x1
	flat_load_b64 v[6:7], v[2:3] offset:96
	flat_load_b64 v[4:5], v[2:3] offset:72
	v_mov_b32_e32 v14, 0
	v_mov_b32_e32 v15, 0
	s_wait_loadcnt_dscnt 0x101
	v_lshlrev_b64_e32 v[28:29], 9, v[6:7]
.LBB2_8:
	s_wait_alu 0xfffe
	s_or_b32 exec_lo, exec_lo, s0
	s_trap 2
	ds_load_b64 v[6:7], v0
	s_mov_b32 s1, 0
	s_mov_b32 s2, exec_lo
	s_wait_dscnt 0x0
	v_cmp_ne_u32_e32 vcc_lo, -1, v6
	s_wait_alu 0xfffd
	v_cndmask_b32_e64 v35, 0, 1, vcc_lo
	v_cmp_ne_u32_e32 vcc_lo, -1, v7
	s_wait_alu 0xfffd
	s_delay_alu instid0(VALU_DEP_2) | instskip(NEXT) | instid1(VALU_DEP_1)
	v_add_co_ci_u32_e64 v8, null, 0, v35, vcc_lo
	v_lshlrev_b32_e32 v6, 1, v8
	s_delay_alu instid0(VALU_DEP_1)
	v_cmpx_le_u32_e64 v6, v1
	s_wait_alu 0xfffe
	s_xor_b32 s56, exec_lo, s2
	s_cbranch_execz .LBB2_1258
; %bb.9:
	s_clause 0x3
	flat_load_b128 v[10:13], v[2:3] offset:16
	flat_load_b64 v[29:30], v[2:3] offset:104
	flat_load_u16 v7, v[2:3] offset:8
	flat_load_b32 v6, v[2:3] offset:4
	s_trap 2
	s_load_b32 s0, s[8:9], 0x0
	v_dual_mov_b32 v9, 0 :: v_dual_mov_b32 v70, 4
	s_wait_kmcnt 0x0
	s_cmp_lt_u32 ttmp9, s0
	s_cselect_b32 s0, 12, 18
	s_wait_alu 0xfffe
	s_add_nc_u64 s[0:1], s[8:9], s[0:1]
	global_load_u16 v32, v9, s[0:1]
	ds_load_b32 v9, v0
	s_mov_b32 s1, exec_lo
	s_wait_dscnt 0x0
	v_readfirstlane_b32 s7, v9
	v_cmpx_ge_i32_e64 v0, v35
	s_cbranch_execz .LBB2_19
; %bb.10:
	v_cmp_ge_u32_e64 s0, v0, v8
                                        ; implicit-def: $vgpr70
	s_wait_alu 0xfffe
	s_and_saveexec_b32 s2, s0
	s_wait_alu 0xfffe
	s_xor_b32 s0, exec_lo, s2
	s_cbranch_execz .LBB2_16
; %bb.11:
	v_cndmask_b32_e64 v9, 0, 1, vcc_lo
	s_mov_b32 s2, exec_lo
	s_delay_alu instid0(VALU_DEP_1) | instskip(NEXT) | instid1(VALU_DEP_1)
	v_sub_nc_u32_e32 v9, v1, v9
	v_cmpx_ge_u32_e64 v0, v9
	s_wait_alu 0xfffe
	s_xor_b32 s2, exec_lo, s2
; %bb.12:
                                        ; implicit-def: $vgpr8
; %bb.13:
	s_wait_alu 0xfffe
	s_or_saveexec_b32 s2, s2
	v_mov_b32_e32 v70, 16
	s_wait_alu 0xfffe
	s_xor_b32 exec_lo, exec_lo, s2
; %bb.14:
	v_sub_nc_u32_e32 v8, v1, v8
	s_delay_alu instid0(VALU_DEP_1)
	v_cmp_lt_i32_e32 vcc_lo, v0, v8
	s_wait_alu 0xfffd
	v_cndmask_b32_e64 v70, 32, 0, vcc_lo
; %bb.15:
	s_or_b32 exec_lo, exec_lo, s2
.LBB2_16:
	s_wait_alu 0xfffe
	s_and_not1_saveexec_b32 s0, s0
; %bb.17:
	v_mov_b32_e32 v70, 8
; %bb.18:
	s_wait_alu 0xfffe
	s_or_b32 exec_lo, exec_lo, s0
.LBB2_19:
	s_wait_alu 0xfffe
	s_or_b32 exec_lo, exec_lo, s1
	v_and_b32_e32 v8, 36, v70
	s_delay_alu instid0(VALU_DEP_1)
	v_cmp_ne_u32_e32 vcc_lo, 0, v8
	v_mov_b32_e32 v8, -1
	s_and_saveexec_b32 s0, vcc_lo
	s_cbranch_execz .LBB2_21
; %bb.20:
	s_trap 2
	ds_load_b32 v8, v0
.LBB2_21:
	s_wait_alu 0xfffe
	s_or_b32 exec_lo, exec_lo, s0
	v_and_b32_e32 v9, 24, v70
	s_mov_b32 s1, exec_lo
	s_delay_alu instid0(VALU_DEP_1)
	v_cmpx_ne_u32_e32 0, v9
	s_cbranch_execz .LBB2_23
; %bb.22:
	s_trap 2
	s_wait_dscnt 0x0
	ds_load_b32 v8, v0
.LBB2_23:
	s_wait_alu 0xfffe
	s_or_b32 exec_lo, exec_lo, s1
	s_wait_loadcnt 0x1
	v_lshrrev_b64 v[6:7], 31, v[6:7]
	v_mov_b32_e32 v18, 0
	s_wait_dscnt 0x0
	v_ashrrev_i32_e32 v9, 31, v8
                                        ; implicit-def: $vgpr71
                                        ; implicit-def: $vgpr38_vgpr39
                                        ; implicit-def: $vgpr22_vgpr23
                                        ; implicit-def: $vgpr26_vgpr27
                                        ; implicit-def: $vgpr20_vgpr21
	s_delay_alu instid0(VALU_DEP_3) | instskip(SKIP_2) | instid1(VALU_DEP_3)
	v_dual_mov_b32 v19, 0 :: v_dual_and_b32 v16, 3, v6
	v_mov_b32_e32 v6, 0
	v_mov_b32_e32 v7, 0
	v_and_b32_e32 v33, 0xffff, v16
                                        ; implicit-def: $vgpr16_vgpr17
	s_and_saveexec_b32 s0, vcc_lo
	s_cbranch_execz .LBB2_33
; %bb.24:
	s_trap 2
	ds_load_b64 v[6:7], v0
	v_lshlrev_b64_e32 v[16:17], 3, v[8:9]
	s_mov_b32 s1, exec_lo
	s_wait_dscnt 0x0
	s_delay_alu instid0(VALU_DEP_1) | instskip(SKIP_1) | instid1(VALU_DEP_2)
	v_add_co_u32 v6, vcc_lo, v6, v16
	s_wait_alu 0xfffd
	v_add_co_ci_u32_e64 v7, null, v7, v17, vcc_lo
                                        ; implicit-def: $vgpr16_vgpr17
	flat_load_b64 v[6:7], v[6:7]
	s_wait_loadcnt_dscnt 0x0
	v_mad_co_u64_u32 v[24:25], null, 0xa8, v33, v[6:7]
	flat_load_b32 v6, v[24:25] offset:640
	s_wait_loadcnt_dscnt 0x0
	v_cmpx_eq_u32_e32 1, v6
	s_cbranch_execz .LBB2_26
; %bb.25:
	flat_load_b64 v[16:17], v[24:25] offset:648
	v_or_b32_e32 v70, 0x2000, v70
	s_wait_loadcnt_dscnt 0x0
	flat_load_b64 v[6:7], v[16:17]
	s_trap 2
	s_wait_loadcnt_dscnt 0x0
	ds_store_b64 v0, v[6:7]
	flat_load_b64 v[6:7], v[16:17] offset:8
	s_wait_loadcnt_dscnt 0x0
	ds_store_b64 v0, v[6:7]
	flat_load_b64 v[6:7], v[16:17] offset:16
	s_wait_loadcnt_dscnt 0x0
	ds_store_b64 v0, v[6:7]
.LBB2_26:
	s_wait_alu 0xfffe
	s_or_b32 exec_lo, exec_lo, s1
	flat_load_b64 v[6:7], v[24:25] offset:608
	v_and_b32_e32 v18, 32, v70
	s_mov_b32 s1, exec_lo
                                        ; implicit-def: $vgpr20_vgpr21
	s_wait_loadcnt_dscnt 0x0
	v_add_co_u32 v6, vcc_lo, v6, 3
	s_wait_alu 0xfffd
	v_add_co_ci_u32_e64 v39, null, 0, v7, vcc_lo
	s_delay_alu instid0(VALU_DEP_2)
	v_and_b32_e32 v38, -4, v6
	v_cmpx_ne_u32_e32 0, v18
	s_cbranch_execz .LBB2_28
; %bb.27:
	flat_load_b64 v[20:21], v[24:25] offset:560
	global_wb scope:SCOPE_SYS
	s_wait_storecnt 0x0
	s_wait_loadcnt_dscnt 0x0
	flat_store_b64 v[20:21], v[38:39] scope:SCOPE_SYS
.LBB2_28:
	s_wait_alu 0xfffe
	s_or_b32 exec_lo, exec_lo, s1
	v_and_b32_e32 v22, 4, v70
	v_add_co_u32 v18, vcc_lo, 0x1f8, v24
	v_mov_b32_e32 v6, 0
	s_wait_alu 0xfffd
	v_add_co_ci_u32_e64 v19, null, 0, v25, vcc_lo
	v_mov_b32_e32 v7, 0
	v_cmp_ne_u32_e32 vcc_lo, 0, v22
                                        ; implicit-def: $vgpr71
                                        ; implicit-def: $vgpr22_vgpr23
                                        ; implicit-def: $vgpr26_vgpr27
	s_and_saveexec_b32 s1, vcc_lo
	s_cbranch_execz .LBB2_32
; %bb.29:
	v_and_b32_e32 v6, 0x800, v70
	s_mov_b32 s2, exec_lo
	s_delay_alu instid0(VALU_DEP_1)
	v_cmpx_eq_u32_e32 0, v6
	s_cbranch_execz .LBB2_31
; %bb.30:
	s_trap 2
	ds_store_b64 v0, v[18:19]
.LBB2_31:
	s_wait_alu 0xfffe
	s_or_b32 exec_lo, exec_lo, s2
	flat_load_b64 v[20:21], v[24:25] offset:552
	s_wait_loadcnt_dscnt 0x0
	flat_load_b64 v[26:27], v[20:21] scope:SCOPE_SYS
	s_wait_loadcnt_dscnt 0x0
	global_inv scope:SCOPE_SYS
	s_clause 0x2
	flat_load_b64 v[6:7], v[24:25] offset:600
	flat_load_b32 v71, v[24:25] offset:576
	flat_load_b64 v[22:23], v[24:25] offset:520
	v_or_b32_e32 v24, 0x100, v70
	s_wait_loadcnt_dscnt 0x202
	v_cmp_eq_u64_e32 vcc_lo, 0, v[6:7]
	s_wait_alu 0xfffd
	s_delay_alu instid0(VALU_DEP_2)
	v_cndmask_b32_e32 v70, v24, v70, vcc_lo
.LBB2_32:
	s_wait_alu 0xfffe
	s_or_b32 exec_lo, exec_lo, s1
.LBB2_33:
	s_wait_alu 0xfffe
	s_or_b32 exec_lo, exec_lo, s0
	v_and_b32_e32 v24, 24, v70
	s_delay_alu instid0(VALU_DEP_1)
	v_cmp_ne_u32_e32 vcc_lo, 0, v24
                                        ; implicit-def: $vgpr24_vgpr25
	s_and_saveexec_b32 s0, vcc_lo
	s_cbranch_execz .LBB2_41
; %bb.34:
	s_trap 2
	ds_load_b64 v[6:7], v0
	v_lshlrev_b64_e32 v[8:9], 3, v[8:9]
	v_or_b32_e32 v24, 0x100, v70
	s_wait_dscnt 0x0
	s_delay_alu instid0(VALU_DEP_2) | instskip(SKIP_1) | instid1(VALU_DEP_3)
	v_add_co_u32 v6, vcc_lo, v6, v8
	s_wait_alu 0xfffd
	v_add_co_ci_u32_e64 v7, null, v7, v9, vcc_lo
	flat_load_b64 v[6:7], v[6:7]
	s_wait_loadcnt_dscnt 0x0
	v_mad_co_u64_u32 v[18:19], null, 0xa8, v33, v[6:7]
	flat_load_b128 v[6:9], v[18:19] offset:96
	s_wait_loadcnt_dscnt 0x0
	v_cmp_eq_u64_e32 vcc_lo, 0, v[6:7]
	s_wait_alu 0xfffd
	v_cndmask_b32_e32 v70, v24, v70, vcc_lo
	s_delay_alu instid0(VALU_DEP_1) | instskip(NEXT) | instid1(VALU_DEP_1)
	v_and_b32_e32 v24, 16, v70
	v_cmp_ne_u32_e32 vcc_lo, 0, v24
                                        ; implicit-def: $vgpr24_vgpr25
	s_and_saveexec_b32 s1, vcc_lo
	s_cbranch_execz .LBB2_36
; %bb.35:
	s_clause 0x2
	flat_load_b64 v[20:21], v[18:19] offset:48
	flat_load_b64 v[24:25], v[18:19] offset:120
	;; [unrolled: 1-line block ×3, first 2 shown]
.LBB2_36:
	s_wait_alu 0xfffe
	s_or_b32 exec_lo, exec_lo, s1
	v_add_co_u32 v8, vcc_lo, v8, 3
	v_and_b32_e32 v33, 8, v70
	s_wait_alu 0xfffd
	v_add_co_ci_u32_e64 v39, null, 0, v9, vcc_lo
	s_delay_alu instid0(VALU_DEP_3)
	v_and_b32_e32 v38, -4, v8
	s_mov_b32 s1, exec_lo
	v_cmpx_ne_u32_e32 0, v33
	s_cbranch_execz .LBB2_40
; %bb.37:
	v_and_b32_e32 v8, 0x800, v70
	s_mov_b32 s2, exec_lo
	s_delay_alu instid0(VALU_DEP_1)
	v_cmpx_eq_u32_e32 0, v8
	s_cbranch_execz .LBB2_39
; %bb.38:
	s_trap 2
	ds_store_b64 v0, v[18:19]
.LBB2_39:
	s_wait_alu 0xfffe
	s_or_b32 exec_lo, exec_lo, s2
	s_wait_loadcnt_dscnt 0x202
	flat_load_b64 v[20:21], v[18:19] offset:56
	s_wait_loadcnt_dscnt 0x0
	flat_load_b64 v[26:27], v[20:21] scope:SCOPE_SYS
	s_wait_loadcnt_dscnt 0x0
	global_inv scope:SCOPE_SYS
	s_clause 0x1
	flat_load_b32 v71, v[18:19] offset:72
	flat_load_b64 v[22:23], v[18:19] offset:16
.LBB2_40:
	s_wait_alu 0xfffe
	s_or_b32 exec_lo, exec_lo, s1
.LBB2_41:
	s_wait_alu 0xfffe
	s_or_b32 exec_lo, exec_lo, s0
	v_cmp_eq_u32_e64 s0, 0, v0
	s_and_saveexec_b32 s1, s0
	s_cbranch_execz .LBB2_43
; %bb.42:
	flat_load_b64 v[8:9], v[2:3] offset:32
	ds_store_2addr_b64 v0, v[12:13], v[10:11] offset1:1
	s_trap 2
	s_wait_loadcnt_dscnt 0x1
	ds_store_b64 v0, v[8:9]
	ds_store_b64 v0, v[29:30]
.LBB2_43:
	s_wait_alu 0xfffe
	s_or_b32 exec_lo, exec_lo, s1
	v_mov_b32_e32 v12, 0
	s_wait_loadcnt 0x0
	v_dual_mov_b32 v13, 0 :: v_dual_and_b32 v30, 0xffff, v32
	s_mov_b32 s57, exec_lo
	v_cmpx_lt_i64_e32 0, v[4:5]
	s_cbranch_execz .LBB2_1224
; %bb.44:
	flat_load_b32 v3, v[2:3] offset:4
	s_ashr_i32 s41, s40, 31
	s_add_co_i32 s58, s40, s40
	s_not_b32 s6, s40
	v_dual_mov_b32 v85, 0x90 :: v_dual_and_b32 v8, 31, v31
	v_ashrrev_i32_e32 v9, 31, v0
	v_lshrrev_b32_e32 v81, 5, v1
	s_cmp_gt_i32 s40, 0
	v_and_b32_e32 v82, 0x1fe0, v1
	s_wait_alu 0xfffe
	s_cselect_b32 s6, s6, -1
	v_mov_b32_e32 v12, 0
	s_wait_alu 0xfffe
	s_add_co_i32 s60, s6, s58
	v_cmp_eq_u32_e64 s6, 0, v8
	v_lshrrev_b32_e32 v8, 27, v9
	v_dual_mov_b32 v13, 0 :: v_dual_lshlrev_b32 v96, 9, v81
	v_subrev_nc_u32_e32 v99, 32, v82
	s_ashr_i32 s10, s7, 31
	s_delay_alu instid0(VALU_DEP_3) | instskip(NEXT) | instid1(VALU_DEP_3)
	v_add_nc_u32_e32 v8, v0, v8
	v_add_nc_u32_e32 v100, 0xfffffe00, v96
	s_wait_alu 0xfffe
	s_lshr_b32 s10, s10, 25
	v_ashrrev_i32_e32 v101, 31, v99
	s_wait_alu 0xfffe
	s_add_co_i32 s7, s7, s10
	v_ashrrev_i32_e32 v102, 5, v8
	v_and_b32_e32 v8, 0xffffffe0, v8
	v_ashrrev_i32_e32 v103, 31, v100
	s_wait_alu 0xfffe
	s_ashr_i32 s62, s7, 7
	v_add_co_u32 v112, s7, v99, 32
	s_wait_alu 0xf1ff
	v_add_co_ci_u32_e64 v113, null, 0, v101, s7
	v_add_co_u32 v116, s7, 0x200, v100
	v_sub_nc_u32_e32 v114, v0, v8
	v_lshlrev_b32_e32 v8, 10, v102
	s_wait_alu 0xf1ff
	v_add_co_ci_u32_e64 v117, null, 0, v103, s7
	v_and_b32_e32 v36, 0x3ffffe00, v28
	s_ashr_i32 s61, s60, 31
	s_cmp_gt_i32 s40, 2
	v_dual_mov_b32 v2, 0 :: v_dual_lshlrev_b32 v83, 4, v0
	s_cselect_b32 s63, -1, 0
	s_add_co_i32 s13, s40, 1
	v_lshl_add_u32 v34, v114, 4, v8
	s_delay_alu instid0(VALU_DEP_2)
	v_dual_mov_b32 v28, 0 :: v_dual_mov_b32 v37, v2
	v_mov_b32_e32 v29, 0
	v_mad_co_i64_i32 v[32:33], null, v36, s40, 0
	v_cmp_ge_i32_e32 vcc_lo, v0, v1
	s_wait_dscnt 0x2
	v_cmp_eq_u64_e64 s4, 0, v[24:25]
	v_cmp_ne_u64_e64 s5, 0, v[24:25]
	v_ashrrev_i32_e32 v80, 31, v71
	v_cmp_eq_u32_e64 s1, 32, v1
	v_cmp_ne_u32_e64 s2, 32, v1
	v_cmp_ne_u32_e64 s3, v1, v30
	v_dual_mov_b32 v84, 1 :: v_dual_lshlrev_b32 v87, 10, v81
	v_dual_mov_b32 v86, 0x88 :: v_dual_lshlrev_b32 v97, 8, v81
	v_ashrrev_i32_e32 v98, 31, v83
	v_sub_nc_u32_e32 v115, 0, v102
	v_cmp_gt_i32_e64 s10, 1, v114
	v_cmp_lt_i32_e64 s11, v114, v35
	v_cmp_le_i32_e64 s12, v114, v35
	v_ashrrev_i32_e32 v35, 31, v34
	s_mov_b32 s43, 0
	s_mov_b32 s59, 0x47600000
	s_add_nc_u64 s[44:45], s[40:41], -1
	s_mov_b32 s77, 0
	s_trap 2
	s_wait_loadcnt_dscnt 0x0
	v_and_b32_e32 v3, 1, v3
	s_delay_alu instid0(VALU_DEP_1)
	v_cmp_eq_u32_e64 s7, 1, v3
	s_xor_b32 s72, s7, -1
	s_wait_alu 0xfffe
	s_cmp_ge_i32 s13, s40
	s_cselect_b32 s14, s40, 0
	s_add_co_i32 s73, s40, -2
	s_wait_alu 0xfffe
	s_sub_co_i32 s75, s13, s14
	s_xor_b32 s74, vcc_lo, -1
	s_ashr_i32 s46, s41, 31
	s_sub_co_i32 s76, 0, s40
	s_wait_alu 0xfffe
	s_ashr_i32 s78, s75, 31
	s_branch .LBB2_47
.LBB2_45:                               ;   in Loop: Header=BB2_47 Depth=1
	s_or_b32 exec_lo, exec_lo, s15
.LBB2_46:                               ;   in Loop: Header=BB2_47 Depth=1
	s_wait_alu 0xfffe
	s_or_b32 exec_lo, exec_lo, s14
	v_add_co_u32 v28, vcc_lo, v28, v32
	s_wait_alu 0xfffd
	v_add_co_ci_u32_e64 v29, null, v29, v33, vcc_lo
	s_delay_alu instid0(VALU_DEP_1)
	v_cmp_ge_i64_e32 vcc_lo, v[28:29], v[4:5]
	s_or_b32 s77, vcc_lo, s77
	s_wait_alu 0xfffe
	s_and_not1_b32 exec_lo, exec_lo, s77
	s_cbranch_execz .LBB2_1223
.LBB2_47:                               ; =>This Loop Header: Depth=1
                                        ;     Child Loop BB2_57 Depth 2
                                        ;       Child Loop BB2_65 Depth 3
                                        ;       Child Loop BB2_89 Depth 3
	;; [unrolled: 1-line block ×9, first 2 shown]
                                        ;     Child Loop BB2_199 Depth 2
                                        ;       Child Loop BB2_205 Depth 3
                                        ;       Child Loop BB2_229 Depth 3
                                        ;       Child Loop BB2_252 Depth 3
                                        ;     Child Loop BB2_271 Depth 2
                                        ;       Child Loop BB2_274 Depth 3
                                        ;         Child Loop BB2_282 Depth 4
                                        ;         Child Loop BB2_310 Depth 4
	;; [unrolled: 1-line block ×9, first 2 shown]
                                        ;       Child Loop BB2_420 Depth 3
                                        ;         Child Loop BB2_426 Depth 4
                                        ;         Child Loop BB2_454 Depth 4
                                        ;         Child Loop BB2_473 Depth 4
                                        ;     Child Loop BB2_495 Depth 2
                                        ;       Child Loop BB2_503 Depth 3
                                        ;       Child Loop BB2_531 Depth 3
	;; [unrolled: 1-line block ×4, first 2 shown]
                                        ;         Child Loop BB2_574 Depth 4
                                        ;       Child Loop BB2_580 Depth 3
                                        ;         Child Loop BB2_581 Depth 4
                                        ;       Child Loop BB2_590 Depth 3
                                        ;       Child Loop BB2_595 Depth 3
                                        ;         Child Loop BB2_596 Depth 4
                                        ;       Child Loop BB2_608 Depth 3
                                        ;       Child Loop BB2_613 Depth 3
	;; [unrolled: 1-line block ×6, first 2 shown]
                                        ;     Child Loop BB2_678 Depth 2
                                        ;       Child Loop BB2_684 Depth 3
                                        ;       Child Loop BB2_712 Depth 3
	;; [unrolled: 1-line block ×3, first 2 shown]
                                        ;     Child Loop BB2_753 Depth 2
                                        ;       Child Loop BB2_756 Depth 3
                                        ;         Child Loop BB2_764 Depth 4
                                        ;         Child Loop BB2_792 Depth 4
	;; [unrolled: 1-line block ×4, first 2 shown]
                                        ;           Child Loop BB2_835 Depth 5
                                        ;         Child Loop BB2_841 Depth 4
                                        ;           Child Loop BB2_842 Depth 5
                                        ;         Child Loop BB2_851 Depth 4
                                        ;         Child Loop BB2_856 Depth 4
                                        ;           Child Loop BB2_857 Depth 5
                                        ;         Child Loop BB2_869 Depth 4
                                        ;         Child Loop BB2_874 Depth 4
	;; [unrolled: 1-line block ×6, first 2 shown]
                                        ;       Child Loop BB2_939 Depth 3
                                        ;         Child Loop BB2_945 Depth 4
                                        ;         Child Loop BB2_973 Depth 4
	;; [unrolled: 1-line block ×3, first 2 shown]
                                        ;     Child Loop BB2_1017 Depth 2
                                        ;       Child Loop BB2_1025 Depth 3
                                        ;       Child Loop BB2_1049 Depth 3
	;; [unrolled: 1-line block ×9, first 2 shown]
                                        ;     Child Loop BB2_1157 Depth 2
                                        ;       Child Loop BB2_1163 Depth 3
                                        ;       Child Loop BB2_1187 Depth 3
	;; [unrolled: 1-line block ×3, first 2 shown]
	v_sub_co_u32 v48, vcc_lo, v4, v28
	s_wait_alu 0xfffd
	v_sub_co_ci_u32_e64 v49, null, v5, v29, vcc_lo
	s_mov_b32 s16, exec_lo
	v_cmpx_lt_i64_e64 v[48:49], v[32:33]
	s_cbranch_execz .LBB2_53
; %bb.48:                               ;   in Loop: Header=BB2_47 Depth=1
	v_add_co_u32 v10, vcc_lo, s44, v48
	s_wait_alu 0xfffd
	v_add_co_ci_u32_e64 v11, null, s45, v49, vcc_lo
                                        ; implicit-def: $vgpr8_vgpr9
	s_mov_b32 s13, exec_lo
	v_or_b32_e32 v3, s41, v11
	s_delay_alu instid0(VALU_DEP_1)
	v_cmpx_ne_u64_e32 0, v[2:3]
	s_wait_alu 0xfffe
	s_xor_b32 s17, exec_lo, s13
	s_cbranch_execz .LBB2_50
; %bb.49:                               ;   in Loop: Header=BB2_47 Depth=1
	s_mov_b32 s47, s46
	v_ashrrev_i32_e32 v3, 31, v11
	s_wait_alu 0xfffe
	s_add_nc_u64 s[14:15], s[40:41], s[46:47]
	s_wait_alu 0xfffe
	s_xor_b64 s[14:15], s[14:15], s[46:47]
	v_add_co_u32 v8, vcc_lo, v10, v3
	s_wait_alu 0xfffe
	s_cvt_f32_u32 s13, s14
	s_cvt_f32_u32 s18, s15
	s_sub_nc_u64 s[20:21], 0, s[14:15]
	s_wait_alu 0xfffd
	v_add_co_ci_u32_e64 v9, null, v11, v3, vcc_lo
	s_wait_alu 0xfffe
	s_fmamk_f32 s13, s18, 0x4f800000, s13
	v_xor_b32_e32 v50, v8, v3
	s_delay_alu instid0(VALU_DEP_2) | instskip(SKIP_3) | instid1(TRANS32_DEP_1)
	v_xor_b32_e32 v51, v9, v3
	s_wait_alu 0xfffe
	v_s_rcp_f32 s13, s13
	v_xor_b32_e32 v3, s46, v3
	s_mul_f32 s13, s13, 0x5f7ffffc
	s_wait_alu 0xfffe
	s_delay_alu instid0(SALU_CYCLE_2) | instskip(SKIP_1) | instid1(SALU_CYCLE_2)
	s_mul_f32 s18, s13, 0x2f800000
	s_wait_alu 0xfffe
	s_trunc_f32 s18, s18
	s_wait_alu 0xfffe
	s_delay_alu instid0(SALU_CYCLE_2) | instskip(SKIP_2) | instid1(SALU_CYCLE_1)
	s_fmamk_f32 s13, s18, 0xcf800000, s13
	s_cvt_u32_f32 s19, s18
	s_wait_alu 0xfffe
	s_cvt_u32_f32 s18, s13
	s_wait_alu 0xfffe
	s_delay_alu instid0(SALU_CYCLE_2)
	s_mul_u64 s[22:23], s[20:21], s[18:19]
	s_wait_alu 0xfffe
	s_mul_hi_u32 s25, s18, s23
	s_mul_i32 s24, s18, s23
	s_mul_hi_u32 s42, s18, s22
	s_mul_i32 s26, s19, s22
	s_wait_alu 0xfffe
	s_add_nc_u64 s[24:25], s[42:43], s[24:25]
	s_mul_hi_u32 s13, s19, s22
	s_mul_hi_u32 s27, s19, s23
	s_mul_i32 s22, s19, s23
	s_wait_alu 0xfffe
	s_add_co_u32 s23, s24, s26
	s_add_co_ci_u32 s42, s25, s13
	s_add_co_ci_u32 s23, s27, 0
	s_wait_alu 0xfffe
	s_add_nc_u64 s[22:23], s[42:43], s[22:23]
	s_wait_alu 0xfffe
	s_add_co_u32 s18, s18, s22
	s_cselect_b32 s13, -1, 0
	s_wait_alu 0xfffe
	s_cmp_lg_u32 s13, 0
	s_add_co_ci_u32 s19, s19, s23
	s_wait_alu 0xfffe
	s_mul_u64 s[20:21], s[20:21], s[18:19]
	s_wait_alu 0xfffe
	s_mul_hi_u32 s23, s18, s21
	s_mul_i32 s22, s18, s21
	s_mul_hi_u32 s42, s18, s20
	s_mul_i32 s24, s19, s20
	s_wait_alu 0xfffe
	s_add_nc_u64 s[22:23], s[42:43], s[22:23]
	s_mul_hi_u32 s13, s19, s20
	s_mul_hi_u32 s25, s19, s21
	s_mul_i32 s20, s19, s21
	s_wait_alu 0xfffe
	s_add_co_u32 s21, s22, s24
	s_add_co_ci_u32 s42, s23, s13
	s_add_co_ci_u32 s21, s25, 0
	s_wait_alu 0xfffe
	s_add_nc_u64 s[20:21], s[42:43], s[20:21]
	s_wait_alu 0xfffe
	s_add_co_u32 s13, s18, s20
	s_cselect_b32 s18, -1, 0
	s_wait_alu 0xfffe
	v_mul_hi_u32 v52, v50, s13
	s_cmp_lg_u32 s18, 0
	v_mad_co_u64_u32 v[10:11], null, v51, s13, 0
	s_add_co_ci_u32 s18, s19, s21
	s_wait_alu 0xfffe
	v_mad_co_u64_u32 v[8:9], null, v50, s18, 0
	v_mad_co_u64_u32 v[36:37], null, v51, s18, 0
	s_delay_alu instid0(VALU_DEP_2) | instskip(SKIP_1) | instid1(VALU_DEP_3)
	v_add_co_u32 v8, vcc_lo, v52, v8
	s_wait_alu 0xfffd
	v_add_co_ci_u32_e64 v9, null, 0, v9, vcc_lo
	s_delay_alu instid0(VALU_DEP_2) | instskip(SKIP_1) | instid1(VALU_DEP_2)
	v_add_co_u32 v8, vcc_lo, v8, v10
	s_wait_alu 0xfffd
	v_add_co_ci_u32_e32 v8, vcc_lo, v9, v11, vcc_lo
	s_wait_alu 0xfffd
	v_add_co_ci_u32_e32 v9, vcc_lo, 0, v37, vcc_lo
	s_delay_alu instid0(VALU_DEP_2) | instskip(SKIP_1) | instid1(VALU_DEP_2)
	v_add_co_u32 v10, vcc_lo, v8, v36
	s_wait_alu 0xfffd
	v_add_co_ci_u32_e64 v11, null, 0, v9, vcc_lo
	s_delay_alu instid0(VALU_DEP_2) | instskip(SKIP_1) | instid1(VALU_DEP_3)
	v_mul_lo_u32 v36, s15, v10
	v_mad_co_u64_u32 v[8:9], null, s14, v10, 0
	v_mul_lo_u32 v37, s14, v11
	s_delay_alu instid0(VALU_DEP_2) | instskip(NEXT) | instid1(VALU_DEP_2)
	v_sub_co_u32 v8, vcc_lo, v50, v8
	v_add3_u32 v9, v9, v37, v36
	v_add_co_u32 v37, s13, v10, 2
	s_wait_alu 0xf1ff
	v_add_co_ci_u32_e64 v50, null, 0, v11, s13
	s_delay_alu instid0(VALU_DEP_3) | instskip(SKIP_3) | instid1(VALU_DEP_3)
	v_sub_nc_u32_e32 v36, v51, v9
	v_sub_co_u32 v52, s13, v8, s14
	s_wait_alu 0xfffd
	v_sub_co_ci_u32_e64 v9, null, v51, v9, vcc_lo
	v_subrev_co_ci_u32_e64 v36, null, s15, v36, vcc_lo
	s_delay_alu instid0(VALU_DEP_3) | instskip(SKIP_1) | instid1(VALU_DEP_2)
	v_cmp_le_u32_e32 vcc_lo, s14, v52
	s_wait_alu 0xf1ff
	v_subrev_co_ci_u32_e64 v36, null, 0, v36, s13
	s_wait_alu 0xfffd
	v_cndmask_b32_e64 v51, 0, -1, vcc_lo
	s_delay_alu instid0(VALU_DEP_2)
	v_cmp_le_u32_e32 vcc_lo, s15, v36
	s_wait_alu 0xfffd
	v_cndmask_b32_e64 v52, 0, -1, vcc_lo
	v_cmp_le_u32_e32 vcc_lo, s14, v8
	s_wait_alu 0xfffd
	v_cndmask_b32_e64 v8, 0, -1, vcc_lo
	;; [unrolled: 3-line block ×3, first 2 shown]
	v_cmp_eq_u32_e32 vcc_lo, s15, v36
	s_wait_alu 0xfffd
	v_cndmask_b32_e32 v36, v52, v51, vcc_lo
	v_add_co_u32 v51, vcc_lo, v10, 1
	s_wait_alu 0xfffd
	v_add_co_ci_u32_e64 v52, null, 0, v11, vcc_lo
	v_cmp_eq_u32_e32 vcc_lo, s15, v9
	s_wait_alu 0xfffd
	v_cndmask_b32_e32 v8, v53, v8, vcc_lo
	v_cmp_ne_u32_e32 vcc_lo, 0, v36
	s_wait_alu 0xfffd
	v_cndmask_b32_e32 v9, v52, v50, vcc_lo
	s_delay_alu instid0(VALU_DEP_3) | instskip(SKIP_2) | instid1(VALU_DEP_2)
	v_cmp_ne_u32_e64 s13, 0, v8
	v_cndmask_b32_e32 v8, v51, v37, vcc_lo
	s_wait_alu 0xf1ff
	v_cndmask_b32_e64 v9, v11, v9, s13
	s_delay_alu instid0(VALU_DEP_2) | instskip(NEXT) | instid1(VALU_DEP_2)
	v_cndmask_b32_e64 v8, v10, v8, s13
                                        ; implicit-def: $vgpr10
	v_xor_b32_e32 v9, v9, v3
	s_delay_alu instid0(VALU_DEP_2) | instskip(NEXT) | instid1(VALU_DEP_1)
	v_xor_b32_e32 v8, v8, v3
	v_sub_co_u32 v8, vcc_lo, v8, v3
	s_wait_alu 0xfffd
	s_delay_alu instid0(VALU_DEP_3)
	v_sub_co_ci_u32_e64 v9, null, v9, v3, vcc_lo
.LBB2_50:                               ;   in Loop: Header=BB2_47 Depth=1
	s_wait_alu 0xfffe
	s_and_not1_saveexec_b32 s13, s17
	s_cbranch_execz .LBB2_52
; %bb.51:                               ;   in Loop: Header=BB2_47 Depth=1
	v_cvt_f32_u32_e32 v3, s40
	s_delay_alu instid0(VALU_DEP_1) | instskip(NEXT) | instid1(TRANS32_DEP_1)
	v_rcp_iflag_f32_e32 v3, v3
	v_mul_f32_e32 v3, 0x4f7ffffe, v3
	s_delay_alu instid0(VALU_DEP_1) | instskip(NEXT) | instid1(VALU_DEP_1)
	v_cvt_u32_f32_e32 v3, v3
	v_mul_lo_u32 v8, s76, v3
	s_delay_alu instid0(VALU_DEP_1) | instskip(NEXT) | instid1(VALU_DEP_1)
	v_mul_hi_u32 v8, v3, v8
	v_add_nc_u32_e32 v3, v3, v8
	s_delay_alu instid0(VALU_DEP_1) | instskip(NEXT) | instid1(VALU_DEP_1)
	v_mul_hi_u32 v3, v10, v3
	v_mul_lo_u32 v8, v3, s40
	v_add_nc_u32_e32 v9, 1, v3
	s_delay_alu instid0(VALU_DEP_2) | instskip(NEXT) | instid1(VALU_DEP_1)
	v_sub_nc_u32_e32 v8, v10, v8
	v_subrev_nc_u32_e32 v10, s40, v8
	v_cmp_le_u32_e32 vcc_lo, s40, v8
	s_wait_alu 0xfffd
	s_delay_alu instid0(VALU_DEP_2) | instskip(NEXT) | instid1(VALU_DEP_1)
	v_dual_cndmask_b32 v8, v8, v10 :: v_dual_cndmask_b32 v3, v3, v9
	v_cmp_le_u32_e32 vcc_lo, s40, v8
	s_delay_alu instid0(VALU_DEP_2) | instskip(SKIP_1) | instid1(VALU_DEP_1)
	v_add_nc_u32_e32 v9, 1, v3
	s_wait_alu 0xfffd
	v_dual_cndmask_b32 v8, v3, v9 :: v_dual_mov_b32 v9, v2
.LBB2_52:                               ;   in Loop: Header=BB2_47 Depth=1
	s_wait_alu 0xfffe
	s_or_b32 exec_lo, exec_lo, s13
	s_delay_alu instid0(VALU_DEP_1) | instskip(SKIP_2) | instid1(VALU_DEP_2)
	v_add_co_u32 v3, vcc_lo, v8, 15
	s_wait_alu 0xfffd
	v_add_co_ci_u32_e64 v37, null, 0, v9, vcc_lo
	v_and_b32_e32 v36, -16, v3
.LBB2_53:                               ;   in Loop: Header=BB2_47 Depth=1
	s_wait_alu 0xfffe
	s_or_b32 exec_lo, exec_lo, s16
	s_delay_alu instid0(VALU_DEP_2) | instskip(NEXT) | instid1(VALU_DEP_2)
	v_mul_lo_u32 v3, v37, s60
	v_mul_lo_u32 v8, v36, s61
	v_mad_co_u64_u32 v[10:11], null, v36, s60, 0
	v_mov_b32_e32 v65, 0
	s_delay_alu instid0(VALU_DEP_2) | instskip(NEXT) | instid1(VALU_DEP_3)
	v_add3_u32 v11, v11, v8, v3
	v_sub_co_u32 v8, vcc_lo, v48, v10
	s_wait_alu 0xfffd
	s_delay_alu instid0(VALU_DEP_2) | instskip(NEXT) | instid1(VALU_DEP_1)
	v_sub_co_ci_u32_e64 v9, null, v49, v11, vcc_lo
	v_cmp_lt_i64_e32 vcc_lo, v[36:37], v[8:9]
	s_wait_alu 0xfffd
	v_cndmask_b32_e32 v8, v8, v36, vcc_lo
	v_add_co_u32 v118, vcc_lo, v28, v14
	s_wait_alu 0xfffd
	v_add_co_ci_u32_e64 v119, null, v29, v15, vcc_lo
	s_delay_alu instid0(VALU_DEP_3) | instskip(NEXT) | instid1(VALU_DEP_1)
	v_max_i32_e32 v64, 0, v8
	v_add_nc_u32_e32 v3, 31, v64
	s_delay_alu instid0(VALU_DEP_1) | instskip(NEXT) | instid1(VALU_DEP_1)
	v_lshrrev_b32_e32 v3, 1, v3
	v_and_b32_e32 v9, 0x3ffffff0, v3
	v_cmp_lt_i32_e32 vcc_lo, 0, v8
	v_mov_b32_e32 v3, 0
	s_delay_alu instid0(VALU_DEP_3)
	v_max_i32_e32 v8, s62, v9
	s_and_b32 s13, s74, vcc_lo
	s_wait_alu 0xfffe
	s_and_saveexec_b32 s15, s13
	s_cbranch_execz .LBB2_195
; %bb.54:                               ;   in Loop: Header=BB2_47 Depth=1
	v_mov_b32_e32 v65, 0
	s_mov_b32 s18, 1
	s_mov_b32 s17, -1
	s_mov_b32 s16, 0
	s_branch .LBB2_57
.LBB2_55:                               ;   in Loop: Header=BB2_57 Depth=2
	s_wait_alu 0xfffe
	s_or_b32 exec_lo, exec_lo, s14
	v_add_co_u32 v38, vcc_lo, v38, 2
	s_wait_alu 0xfffd
	v_add_co_ci_u32_e64 v39, null, 0, v39, vcc_lo
	global_wb scope:SCOPE_SYS
	s_wait_storecnt 0x0
	s_wait_loadcnt_dscnt 0x0
	flat_store_b64 v[20:21], v[38:39] scope:SCOPE_SYS
.LBB2_56:                               ;   in Loop: Header=BB2_57 Depth=2
	s_wait_alu 0xfffe
	s_or_b32 exec_lo, exec_lo, s13
	v_add_nc_u32_e32 v65, v8, v65
	s_xor_b32 s13, s17, -1
	v_mov_b32_e32 v3, s18
	s_mov_b32 s17, 0
	s_mov_b32 s18, 2
	v_cmp_ge_i32_e32 vcc_lo, v65, v64
	s_wait_alu 0xfffe
	s_or_b32 s13, s13, vcc_lo
	s_wait_alu 0xfffe
	s_and_b32 s13, exec_lo, s13
	s_wait_alu 0xfffe
	s_or_b32 s16, s13, s16
	s_wait_alu 0xfffe
	s_and_not1_b32 exec_lo, exec_lo, s16
	s_cbranch_execz .LBB2_194
.LBB2_57:                               ;   Parent Loop BB2_47 Depth=1
                                        ; =>  This Loop Header: Depth=2
                                        ;       Child Loop BB2_65 Depth 3
                                        ;       Child Loop BB2_89 Depth 3
	;; [unrolled: 1-line block ×9, first 2 shown]
	s_and_saveexec_b32 s13, s0
	s_cbranch_execz .LBB2_59
; %bb.58:                               ;   in Loop: Header=BB2_57 Depth=2
	s_trap 2
	ds_load_b64 v[50:51], v0
	s_wait_dscnt 0x0
	v_add_co_u32 v3, vcc_lo, v50, v118
	s_wait_alu 0xfffd
	v_add_co_ci_u32_e64 v9, null, v51, v119, vcc_lo
	v_ashrrev_i32_e32 v51, 31, v65
	s_delay_alu instid0(VALU_DEP_3) | instskip(SKIP_1) | instid1(VALU_DEP_3)
	v_add_co_u32 v3, vcc_lo, v3, v10
	s_wait_alu 0xfffd
	v_add_co_ci_u32_e64 v9, null, v9, v11, vcc_lo
	s_delay_alu instid0(VALU_DEP_2) | instskip(SKIP_1) | instid1(VALU_DEP_2)
	v_add_co_u32 v50, vcc_lo, v3, v65
	s_wait_alu 0xfffd
	v_add_co_ci_u32_e64 v51, null, v9, v51, vcc_lo
	v_mov_b32_e32 v3, v2
	ds_store_b64 v0, v[50:51]
	ds_store_b64 v0, v[2:3]
.LBB2_59:                               ;   in Loop: Header=BB2_57 Depth=2
	s_wait_alu 0xfffe
	s_or_b32 exec_lo, exec_lo, s13
	v_sub_nc_u32_e32 v3, v64, v65
	v_and_b32_e32 v9, 8, v70
	s_mov_b32 s14, exec_lo
	s_delay_alu instid0(VALU_DEP_2) | instskip(NEXT) | instid1(VALU_DEP_2)
	v_min_i32_e32 v8, v8, v3
	v_cmpx_ne_u32_e32 0, v9
	s_cbranch_execz .LBB2_81
; %bb.60:                               ;   in Loop: Header=BB2_57 Depth=2
	v_add_co_u32 v52, vcc_lo, v26, 8
	s_wait_alu 0xfffd
	v_add_co_ci_u32_e64 v53, null, 0, v27, vcc_lo
	v_add_co_u32 v50, vcc_lo, v38, 2
	s_wait_alu 0xfffd
	v_add_co_ci_u32_e64 v51, null, 0, v39, vcc_lo
	s_mov_b32 s19, exec_lo
	v_cmpx_lt_u64_e64 v[52:53], v[50:51]
	s_cbranch_execz .LBB2_72
; %bb.61:                               ;   in Loop: Header=BB2_57 Depth=2
	v_and_b32_e32 v3, 64, v70
	s_mov_b32 s20, 0
	s_mov_b32 s24, 0
                                        ; implicit-def: $sgpr21
                                        ; implicit-def: $sgpr22
                                        ; implicit-def: $sgpr23
	s_delay_alu instid0(VALU_DEP_1)
	v_cmp_eq_u32_e32 vcc_lo, 0, v3
	s_branch .LBB2_65
.LBB2_62:                               ;   in Loop: Header=BB2_65 Depth=3
	v_add_co_u32 v52, s13, v26, 8
	s_wait_alu 0xf1ff
	v_add_co_ci_u32_e64 v53, null, 0, v27, s13
	s_or_b32 s27, s27, exec_lo
	v_cmp_ge_u64_e64 s13, v[52:53], v[50:51]
	s_or_not1_b32 s26, s13, exec_lo
.LBB2_63:                               ;   in Loop: Header=BB2_65 Depth=3
	s_wait_alu 0xfffe
	s_or_b32 exec_lo, exec_lo, s29
	s_delay_alu instid0(SALU_CYCLE_1)
	s_and_not1_b32 s13, s23, exec_lo
	s_and_b32 s23, s27, exec_lo
	s_and_not1_b32 s22, s22, exec_lo
	s_and_b32 s26, s26, exec_lo
	s_wait_alu 0xfffe
	s_or_b32 s23, s13, s23
	s_or_b32 s22, s22, s26
.LBB2_64:                               ;   in Loop: Header=BB2_65 Depth=3
	s_wait_alu 0xfffe
	s_or_b32 exec_lo, exec_lo, s25
	s_delay_alu instid0(SALU_CYCLE_1)
	s_and_b32 s13, exec_lo, s22
	s_wait_alu 0xfffe
	s_or_b32 s20, s13, s20
	s_and_not1_b32 s13, s21, exec_lo
	s_and_b32 s21, s23, exec_lo
	s_wait_alu 0xfffe
	s_or_b32 s21, s13, s21
	s_and_not1_b32 exec_lo, exec_lo, s20
	s_cbranch_execz .LBB2_69
.LBB2_65:                               ;   Parent Loop BB2_47 Depth=1
                                        ;     Parent Loop BB2_57 Depth=2
                                        ; =>    This Inner Loop Header: Depth=3
	s_sleep 1
	flat_load_b64 v[26:27], v[20:21] scope:SCOPE_SYS
	s_wait_loadcnt_dscnt 0x0
	global_inv scope:SCOPE_SYS
	s_or_b32 s23, s23, exec_lo
	s_or_b32 s22, s22, exec_lo
                                        ; implicit-def: $vgpr3
	s_and_saveexec_b32 s25, vcc_lo
	s_cbranch_execz .LBB2_64
; %bb.66:                               ;   in Loop: Header=BB2_65 Depth=3
	s_wait_alu 0xfffe
	s_cmp_lt_i32 s24, 0x270f
	s_mov_b32 s26, -1
	s_cselect_b32 s28, -1, 0
	s_cmp_gt_i32 s24, 0x270e
	s_cbranch_scc0 .LBB2_68
; %bb.67:                               ;   in Loop: Header=BB2_65 Depth=3
	s_trap 2
	ds_load_b64 v[52:53], v0
	s_wait_alu 0xfffe
	s_and_not1_b32 s24, s28, exec_lo
	s_mov_b32 s27, 0
	s_wait_storecnt 0x0
	s_wait_loadcnt_dscnt 0x0
	flat_load_b32 v3, v[52:53] scope:SCOPE_SYS
	s_wait_loadcnt_dscnt 0x0
	global_inv scope:SCOPE_SYS
	v_cmp_eq_u32_e64 s13, 0, v3
	s_and_b32 s13, s13, exec_lo
	s_wait_alu 0xfffe
	s_or_b32 s28, s24, s13
	s_mov_b32 s24, 0
	s_wait_alu 0xfffe
	s_and_saveexec_b32 s29, s28
	s_cbranch_execz .LBB2_63
	s_branch .LBB2_62
.LBB2_68:                               ;   in Loop: Header=BB2_65 Depth=3
	s_add_co_i32 s24, s24, 1
	s_mov_b32 s27, -1
                                        ; implicit-def: $vgpr3
	s_wait_alu 0xfffe
	s_and_saveexec_b32 s29, s28
	s_cbranch_execz .LBB2_63
	s_branch .LBB2_62
.LBB2_69:                               ;   in Loop: Header=BB2_57 Depth=2
	s_or_b32 exec_lo, exec_lo, s20
	s_wait_alu 0xfffe
	s_xor_b32 s13, s21, -1
	s_wait_alu 0xfffe
	s_and_saveexec_b32 s20, s13
	s_wait_alu 0xfffe
	s_xor_b32 s13, exec_lo, s20
	s_cbranch_execz .LBB2_71
; %bb.70:                               ;   in Loop: Header=BB2_57 Depth=2
	v_or_b32_e32 v70, 64, v70
	s_wait_loadcnt 0x0
	s_wait_storecnt 0x0
	ds_store_b32 v0, v3
	s_trap 2
.LBB2_71:                               ;   in Loop: Header=BB2_57 Depth=2
	s_wait_alu 0xfffe
	s_or_b32 exec_lo, exec_lo, s13
.LBB2_72:                               ;   in Loop: Header=BB2_57 Depth=2
	s_wait_alu 0xfffe
	s_or_b32 exec_lo, exec_lo, s19
	v_and_b32_e32 v3, 0x100, v70
	s_mov_b32 s13, -1
	;;#ASMSTART
	s_wakeup
	;;#ASMEND
	s_delay_alu instid0(VALU_DEP_1)
	v_cmp_ne_u32_e32 vcc_lo, 0, v3
	v_and_b32_e32 v3, 7, v38
                                        ; implicit-def: $vgpr38_vgpr39
	s_and_saveexec_b32 s19, vcc_lo
	s_cbranch_execz .LBB2_76
; %bb.73:                               ;   in Loop: Header=BB2_57 Depth=2
	s_delay_alu instid0(VALU_DEP_1)
	v_mad_co_u64_u32 v[52:53], null, v3, 24, v[6:7]
	v_ashrrev_i32_e32 v9, 31, v8
	flat_load_b32 v38, v[52:53]
	flat_store_b64 v[52:53], v[8:9] offset:8
	s_wait_loadcnt_dscnt 0x1
	v_cmp_eq_u32_e64 s13, 1, v38
	v_cmp_ne_u32_e32 vcc_lo, 1, v38
                                        ; implicit-def: $vgpr38_vgpr39
	s_wait_alu 0xfffe
	s_and_saveexec_b32 s20, s13
	s_cbranch_execz .LBB2_75
; %bb.74:                               ;   in Loop: Header=BB2_57 Depth=2
	flat_load_b32 v38, v[52:53] offset:4 scope:SCOPE_SYS
	s_wait_loadcnt_dscnt 0x0
	v_ashrrev_i32_e32 v39, 31, v38
.LBB2_75:                               ;   in Loop: Header=BB2_57 Depth=2
	s_wait_alu 0xfffe
	s_or_b32 exec_lo, exec_lo, s20
	s_delay_alu instid0(SALU_CYCLE_1)
	s_or_not1_b32 s13, vcc_lo, exec_lo
.LBB2_76:                               ;   in Loop: Header=BB2_57 Depth=2
	s_wait_alu 0xfffe
	s_or_b32 exec_lo, exec_lo, s19
	s_and_saveexec_b32 s19, s13
; %bb.77:                               ;   in Loop: Header=BB2_57 Depth=2
	v_mad_co_i64_i32 v[38:39], null, v3, v71, 0
; %bb.78:                               ;   in Loop: Header=BB2_57 Depth=2
	s_wait_alu 0xfffe
	s_or_b32 exec_lo, exec_lo, s19
	s_delay_alu instid0(VALU_DEP_1) | instskip(SKIP_2) | instid1(VALU_DEP_3)
	v_add_co_u32 v38, vcc_lo, v22, v38
	v_and_b32_e32 v3, 0x2000, v70
	s_wait_alu 0xfffd
	v_add_co_ci_u32_e64 v39, null, v23, v39, vcc_lo
	s_mov_b32 s13, exec_lo
	ds_store_b64 v0, v[38:39] offset:784
	v_cmpx_ne_u32_e32 0, v3
	s_cbranch_execz .LBB2_80
; %bb.79:                               ;   in Loop: Header=BB2_57 Depth=2
	ds_load_b64 v[38:39], v0 offset:872
	s_wait_dscnt 0x0
	v_add_co_u32 v38, vcc_lo, v38, 1
	s_wait_alu 0xfffd
	v_add_co_ci_u32_e64 v39, null, 0, v39, vcc_lo
	ds_store_b64 v0, v[38:39] offset:872
.LBB2_80:                               ;   in Loop: Header=BB2_57 Depth=2
	s_wait_alu 0xfffe
	s_or_b32 exec_lo, exec_lo, s13
	v_dual_mov_b32 v38, v50 :: v_dual_mov_b32 v39, v51
.LBB2_81:                               ;   in Loop: Header=BB2_57 Depth=2
	s_wait_alu 0xfffe
	s_or_b32 exec_lo, exec_lo, s14
	s_and_saveexec_b32 s13, s2
	s_cbranch_execz .LBB2_100
; %bb.82:                               ;   in Loop: Header=BB2_57 Depth=2
	s_and_saveexec_b32 s14, s3
	s_wait_alu 0xfffe
	s_xor_b32 s14, exec_lo, s14
	s_cbranch_execz .LBB2_97
; %bb.83:                               ;   in Loop: Header=BB2_57 Depth=2
	s_and_saveexec_b32 s19, s6
	s_cbranch_execz .LBB2_96
; %bb.84:                               ;   in Loop: Header=BB2_57 Depth=2
	s_mov_b32 s21, exec_lo
	s_mov_b32 s20, exec_lo
	s_wait_alu 0xfffe
	v_mbcnt_lo_u32_b32 v3, s21, 0
	s_wait_storecnt 0x0
	s_wait_loadcnt_dscnt 0x0
	global_inv scope:SCOPE_DEV
	v_cmpx_eq_u32_e32 0, v3
	s_cbranch_execz .LBB2_86
; %bb.85:                               ;   in Loop: Header=BB2_57 Depth=2
	s_bcnt1_i32_b32 s21, s21
	s_wait_alu 0xfffe
	v_dual_mov_b32 v51, v2 :: v_dual_mov_b32 v50, s21
	s_wait_loadcnt 0x0
	ds_add_u64 v0, v[50:51]
	s_trap 2
.LBB2_86:                               ;   in Loop: Header=BB2_57 Depth=2
	s_or_b32 exec_lo, exec_lo, s20
	s_trap 2
	ds_load_b64 v[50:51], v0
	s_wait_dscnt 0x0
	global_inv scope:SCOPE_SE
	v_add_co_u32 v12, vcc_lo, v12, v81
	s_wait_alu 0xfffd
	v_add_co_ci_u32_e64 v13, null, 0, v13, vcc_lo
	s_mov_b32 s20, exec_lo
	v_cmpx_lt_u64_e64 v[50:51], v[12:13]
	s_cbranch_execz .LBB2_95
; %bb.87:                               ;   in Loop: Header=BB2_57 Depth=2
	s_mov_b32 s21, 0
	s_mov_b32 s24, 0
                                        ; implicit-def: $sgpr22
                                        ; implicit-def: $sgpr23
	s_branch .LBB2_89
.LBB2_88:                               ;   in Loop: Header=BB2_89 Depth=3
	s_wait_alu 0xfffe
	s_or_b32 exec_lo, exec_lo, s26
	s_delay_alu instid0(SALU_CYCLE_1)
	s_and_b32 s25, exec_lo, s27
	s_wait_alu 0xfffe
	s_or_b32 s21, s25, s21
	s_and_not1_b32 s22, s22, exec_lo
	s_and_b32 s25, s23, exec_lo
	s_wait_alu 0xfffe
	s_or_b32 s22, s22, s25
	s_and_not1_b32 exec_lo, exec_lo, s21
	s_cbranch_execz .LBB2_93
.LBB2_89:                               ;   Parent Loop BB2_47 Depth=1
                                        ;     Parent Loop BB2_57 Depth=2
                                        ; =>    This Inner Loop Header: Depth=3
	s_wait_alu 0xfffe
	s_add_co_i32 s24, s24, 1
	s_wait_alu 0xfffe
	s_cmp_lg_u32 s24, 0x2710
	s_cselect_b32 s25, -1, 0
	s_wait_alu 0xfffe
	s_and_b32 vcc_lo, exec_lo, s25
	s_wait_alu 0xfffe
	s_cbranch_vccz .LBB2_91
; %bb.90:                               ;   in Loop: Header=BB2_89 Depth=3
	s_mov_b32 s27, -1
	s_or_b32 s23, s23, exec_lo
	s_and_saveexec_b32 s26, s25
	s_cbranch_execz .LBB2_88
	s_branch .LBB2_92
.LBB2_91:                               ;   in Loop: Header=BB2_89 Depth=3
	s_trap 2
	ds_load_b64 v[50:51], v0
	s_and_not1_b32 s25, s25, exec_lo
	s_mov_b32 s24, 0
	s_wait_loadcnt_dscnt 0x0
	flat_load_b32 v3, v[50:51] scope:SCOPE_SYS
	s_wait_loadcnt_dscnt 0x0
	global_inv scope:SCOPE_SYS
	v_cmp_eq_u32_e32 vcc_lo, 0, v3
	s_and_b32 s26, vcc_lo, exec_lo
	s_wait_alu 0xfffe
	s_or_b32 s25, s25, s26
	s_mov_b32 s27, -1
	s_or_b32 s23, s23, exec_lo
	s_wait_alu 0xfffe
	s_and_saveexec_b32 s26, s25
	s_cbranch_execz .LBB2_88
.LBB2_92:                               ;   in Loop: Header=BB2_89 Depth=3
	s_sleep 1
	s_trap 2
	ds_load_b64 v[50:51], v0
	s_wait_dscnt 0x0
	global_inv scope:SCOPE_SE
	s_wait_alu 0xfffe
	s_and_not1_b32 s23, s23, exec_lo
	v_cmp_ge_u64_e32 vcc_lo, v[50:51], v[12:13]
	s_or_not1_b32 s27, vcc_lo, exec_lo
	s_branch .LBB2_88
.LBB2_93:                               ;   in Loop: Header=BB2_57 Depth=2
	s_or_b32 exec_lo, exec_lo, s21
	s_wait_alu 0xfffe
	s_and_saveexec_b32 s21, s22
	s_wait_alu 0xfffe
	s_xor_b32 s21, exec_lo, s21
	s_cbranch_execz .LBB2_95
; %bb.94:                               ;   in Loop: Header=BB2_57 Depth=2
	ds_store_b32 v0, v84
	s_trap 2
.LBB2_95:                               ;   in Loop: Header=BB2_57 Depth=2
	s_wait_alu 0xfffe
	s_or_b32 exec_lo, exec_lo, s20
	;;#ASMSTART
	s_wakeup
	;;#ASMEND
.LBB2_96:                               ;   in Loop: Header=BB2_57 Depth=2
	s_wait_alu 0xfffe
	s_or_b32 exec_lo, exec_lo, s19
.LBB2_97:                               ;   in Loop: Header=BB2_57 Depth=2
	s_wait_alu 0xfffe
	s_and_not1_saveexec_b32 s14, s14
	s_cbranch_execz .LBB2_99
; %bb.98:                               ;   in Loop: Header=BB2_57 Depth=2
	s_wait_storecnt 0x0
	s_wait_loadcnt_dscnt 0x0
	global_inv scope:SCOPE_DEV
	s_barrier_signal -1
	s_barrier_wait -1
.LBB2_99:                               ;   in Loop: Header=BB2_57 Depth=2
	s_wait_alu 0xfffe
	s_or_b32 exec_lo, exec_lo, s14
.LBB2_100:                              ;   in Loop: Header=BB2_57 Depth=2
	s_wait_alu 0xfffe
	s_or_b32 exec_lo, exec_lo, s13
	s_trap 2
	ds_load_b32 v3, v0
	v_and_b32_e32 v9, 0x4000, v70
	s_xor_b32 s13, s1, -1
	s_delay_alu instid0(VALU_DEP_1)
	v_cmp_ne_u32_e32 vcc_lo, 0, v9
	s_wait_alu 0xfffe
	s_and_b32 s14, s13, vcc_lo
	s_wait_alu 0xfffe
	s_and_saveexec_b32 s13, s14
	s_cbranch_execz .LBB2_119
; %bb.101:                              ;   in Loop: Header=BB2_57 Depth=2
	s_and_saveexec_b32 s14, s3
	s_wait_alu 0xfffe
	s_xor_b32 s14, exec_lo, s14
	s_cbranch_execz .LBB2_116
; %bb.102:                              ;   in Loop: Header=BB2_57 Depth=2
	s_and_saveexec_b32 s19, s6
	s_cbranch_execz .LBB2_115
; %bb.103:                              ;   in Loop: Header=BB2_57 Depth=2
	s_mov_b32 s21, exec_lo
	s_mov_b32 s20, exec_lo
	s_wait_alu 0xfffe
	v_mbcnt_lo_u32_b32 v9, s21, 0
	s_wait_storecnt 0x0
	s_wait_loadcnt_dscnt 0x0
	global_inv scope:SCOPE_DEV
	v_cmpx_eq_u32_e32 0, v9
	s_cbranch_execz .LBB2_105
; %bb.104:                              ;   in Loop: Header=BB2_57 Depth=2
	s_bcnt1_i32_b32 s21, s21
	s_wait_alu 0xfffe
	v_dual_mov_b32 v51, v2 :: v_dual_mov_b32 v50, s21
	s_wait_loadcnt 0x0
	ds_add_u64 v0, v[50:51]
	s_trap 2
.LBB2_105:                              ;   in Loop: Header=BB2_57 Depth=2
	s_or_b32 exec_lo, exec_lo, s20
	s_trap 2
	ds_load_b64 v[50:51], v0
	s_wait_dscnt 0x0
	global_inv scope:SCOPE_SE
	v_add_co_u32 v12, vcc_lo, v12, v81
	s_wait_alu 0xfffd
	v_add_co_ci_u32_e64 v13, null, 0, v13, vcc_lo
	s_mov_b32 s20, exec_lo
	v_cmpx_lt_u64_e64 v[50:51], v[12:13]
	s_cbranch_execz .LBB2_114
; %bb.106:                              ;   in Loop: Header=BB2_57 Depth=2
	s_mov_b32 s21, 0
	s_mov_b32 s24, 0
                                        ; implicit-def: $sgpr22
                                        ; implicit-def: $sgpr23
	s_branch .LBB2_108
.LBB2_107:                              ;   in Loop: Header=BB2_108 Depth=3
	s_wait_alu 0xfffe
	s_or_b32 exec_lo, exec_lo, s26
	s_delay_alu instid0(SALU_CYCLE_1)
	s_and_b32 s25, exec_lo, s27
	s_wait_alu 0xfffe
	s_or_b32 s21, s25, s21
	s_and_not1_b32 s22, s22, exec_lo
	s_and_b32 s25, s23, exec_lo
	s_wait_alu 0xfffe
	s_or_b32 s22, s22, s25
	s_and_not1_b32 exec_lo, exec_lo, s21
	s_cbranch_execz .LBB2_112
.LBB2_108:                              ;   Parent Loop BB2_47 Depth=1
                                        ;     Parent Loop BB2_57 Depth=2
                                        ; =>    This Inner Loop Header: Depth=3
	s_wait_alu 0xfffe
	s_add_co_i32 s24, s24, 1
	s_wait_alu 0xfffe
	s_cmp_lg_u32 s24, 0x2710
	s_cselect_b32 s25, -1, 0
	s_wait_alu 0xfffe
	s_and_b32 vcc_lo, exec_lo, s25
	s_wait_alu 0xfffe
	s_cbranch_vccz .LBB2_110
; %bb.109:                              ;   in Loop: Header=BB2_108 Depth=3
	s_mov_b32 s27, -1
	s_or_b32 s23, s23, exec_lo
	s_and_saveexec_b32 s26, s25
	s_cbranch_execz .LBB2_107
	s_branch .LBB2_111
.LBB2_110:                              ;   in Loop: Header=BB2_108 Depth=3
	s_trap 2
	ds_load_b64 v[50:51], v0
	s_and_not1_b32 s25, s25, exec_lo
	s_mov_b32 s24, 0
	s_wait_loadcnt_dscnt 0x0
	flat_load_b32 v9, v[50:51] scope:SCOPE_SYS
	s_wait_loadcnt_dscnt 0x0
	global_inv scope:SCOPE_SYS
	v_cmp_eq_u32_e32 vcc_lo, 0, v9
	s_and_b32 s26, vcc_lo, exec_lo
	s_wait_alu 0xfffe
	s_or_b32 s25, s25, s26
	s_mov_b32 s27, -1
	s_or_b32 s23, s23, exec_lo
	s_wait_alu 0xfffe
	s_and_saveexec_b32 s26, s25
	s_cbranch_execz .LBB2_107
.LBB2_111:                              ;   in Loop: Header=BB2_108 Depth=3
	s_sleep 1
	s_trap 2
	ds_load_b64 v[50:51], v0
	s_wait_dscnt 0x0
	global_inv scope:SCOPE_SE
	s_wait_alu 0xfffe
	s_and_not1_b32 s23, s23, exec_lo
	v_cmp_ge_u64_e32 vcc_lo, v[50:51], v[12:13]
	s_or_not1_b32 s27, vcc_lo, exec_lo
	s_branch .LBB2_107
.LBB2_112:                              ;   in Loop: Header=BB2_57 Depth=2
	s_or_b32 exec_lo, exec_lo, s21
	s_wait_alu 0xfffe
	s_and_saveexec_b32 s21, s22
	s_wait_alu 0xfffe
	s_xor_b32 s21, exec_lo, s21
	s_cbranch_execz .LBB2_114
; %bb.113:                              ;   in Loop: Header=BB2_57 Depth=2
	ds_store_b32 v0, v84
	s_trap 2
.LBB2_114:                              ;   in Loop: Header=BB2_57 Depth=2
	s_wait_alu 0xfffe
	s_or_b32 exec_lo, exec_lo, s20
	;;#ASMSTART
	s_wakeup
	;;#ASMEND
.LBB2_115:                              ;   in Loop: Header=BB2_57 Depth=2
	s_wait_alu 0xfffe
	s_or_b32 exec_lo, exec_lo, s19
.LBB2_116:                              ;   in Loop: Header=BB2_57 Depth=2
	s_wait_alu 0xfffe
	s_and_not1_saveexec_b32 s14, s14
	s_cbranch_execz .LBB2_118
; %bb.117:                              ;   in Loop: Header=BB2_57 Depth=2
	s_wait_storecnt 0x0
	s_wait_loadcnt_dscnt 0x0
	global_inv scope:SCOPE_DEV
	s_barrier_signal -1
	s_barrier_wait -1
.LBB2_118:                              ;   in Loop: Header=BB2_57 Depth=2
	s_wait_alu 0xfffe
	s_or_b32 exec_lo, exec_lo, s14
.LBB2_119:                              ;   in Loop: Header=BB2_57 Depth=2
	s_wait_alu 0xfffe
	s_or_b32 exec_lo, exec_lo, s13
	s_trap 2
	ds_load_b64 v[50:51], v0
	s_wait_dscnt 0x0
	v_cmp_eq_u64_e32 vcc_lo, 0, v[50:51]
	s_cbranch_vccnz .LBB2_127
; %bb.120:                              ;   in Loop: Header=BB2_57 Depth=2
	s_trap 2
	ds_load_b64 v[52:53], v0
	s_wait_dscnt 0x0
	v_cmp_eq_u64_e32 vcc_lo, 0, v[52:53]
	s_cbranch_vccnz .LBB2_127
; %bb.121:                              ;   in Loop: Header=BB2_57 Depth=2
	s_mov_b32 s13, -1
	s_and_saveexec_b32 s14, s10
	s_cbranch_execz .LBB2_123
; %bb.122:                              ;   in Loop: Header=BB2_57 Depth=2
	ds_load_b32 v9, v0 offset:720
	s_wait_dscnt 0x0
	v_and_b32_e32 v9, 15, v9
	s_delay_alu instid0(VALU_DEP_1)
	v_cmp_eq_u32_e32 vcc_lo, 0, v9
	s_or_not1_b32 s13, vcc_lo, exec_lo
.LBB2_123:                              ;   in Loop: Header=BB2_57 Depth=2
	s_wait_alu 0xfffe
	s_or_b32 exec_lo, exec_lo, s14
	s_and_saveexec_b32 s14, s11
	s_cbranch_execz .LBB2_125
; %bb.124:                              ;   in Loop: Header=BB2_57 Depth=2
	ds_load_b32 v9, v0 offset:784
	s_wait_dscnt 0x0
	v_and_b32_e32 v9, 15, v9
	s_delay_alu instid0(VALU_DEP_1)
	v_cmp_eq_u32_e32 vcc_lo, 0, v9
	s_and_b32 s19, s13, vcc_lo
	s_and_not1_b32 s13, s13, exec_lo
	s_wait_alu 0xfffe
	s_and_b32 s19, s19, exec_lo
	s_wait_alu 0xfffe
	s_or_b32 s13, s13, s19
.LBB2_125:                              ;   in Loop: Header=BB2_57 Depth=2
	s_wait_alu 0xfffe
	s_or_b32 exec_lo, exec_lo, s14
	v_cmp_eq_u32_e32 vcc_lo, 0, v3
	s_xor_b32 s13, s13, -1
	v_mov_b32_e32 v55, v0
	s_wait_alu 0xfffe
	v_cndmask_b32_e64 v9, 0, 1, s13
	v_mov_b32_e32 v129, v102
	s_wait_alu 0xfffd
	v_cndmask_b32_e32 v3, 0, v8, vcc_lo
	s_mov_b32 s13, -1
	v_cmp_ne_u32_e32 vcc_lo, 0, v9
	s_delay_alu instid0(VALU_DEP_2)
	v_dual_mov_b32 v9, 0 :: v_dual_mov_b32 v54, v3
	s_cbranch_vccz .LBB2_128
; %bb.126:                              ;   in Loop: Header=BB2_57 Depth=2
	s_wait_alu 0xfffe
	s_and_saveexec_b32 s14, s13
	s_cbranch_execnz .LBB2_141
	s_branch .LBB2_149
.LBB2_127:                              ;   in Loop: Header=BB2_57 Depth=2
	s_mov_b32 s13, 0
	s_and_saveexec_b32 s14, s2
	s_cbranch_execnz .LBB2_150
	s_branch .LBB2_168
.LBB2_128:                              ;   in Loop: Header=BB2_57 Depth=2
	v_ashrrev_i32_e32 v9, 31, v3
	s_mov_b32 s14, exec_lo
	s_delay_alu instid0(VALU_DEP_1) | instskip(NEXT) | instid1(VALU_DEP_1)
	v_lshrrev_b32_e32 v9, 22, v9
	v_add_nc_u32_e32 v9, v3, v9
	s_delay_alu instid0(VALU_DEP_1) | instskip(NEXT) | instid1(VALU_DEP_1)
	v_ashrrev_i32_e32 v9, 10, v9
	v_sub_nc_u32_e32 v67, v9, v102
	s_delay_alu instid0(VALU_DEP_1)
	v_cmpx_lt_i32_e32 0, v67
	s_cbranch_execz .LBB2_132
; %bb.129:                              ;   in Loop: Header=BB2_57 Depth=2
	v_dual_mov_b32 v55, v35 :: v_dual_mov_b32 v54, v34
	s_mov_b32 s19, 0
.LBB2_130:                              ;   Parent Loop BB2_47 Depth=1
                                        ;     Parent Loop BB2_57 Depth=2
                                        ; =>    This Inner Loop Header: Depth=3
	s_delay_alu instid0(VALU_DEP_1) | instskip(SKIP_1) | instid1(VALU_DEP_2)
	v_add_co_u32 v68, vcc_lo, v50, v54
	s_wait_alu 0xfffd
	v_add_co_ci_u32_e64 v69, null, v51, v55, vcc_lo
	v_sub_nc_u32_e32 v67, v67, v81
	s_clause 0x1
	global_load_b128 v[128:131], v[68:69], off th:TH_LOAD_NT
	global_load_b128 v[132:135], v[68:69], off offset:512 th:TH_LOAD_NT
	v_add_co_u32 v68, vcc_lo, v52, v54
	s_wait_alu 0xfffd
	v_add_co_ci_u32_e64 v69, null, v53, v55, vcc_lo
	v_cmp_gt_i32_e32 vcc_lo, 1, v67
	v_add_co_u32 v54, s13, v54, v87
	s_wait_alu 0xf1fe
	v_add_co_ci_u32_e64 v55, null, 0, v55, s13
	s_or_b32 s19, vcc_lo, s19
	s_wait_loadcnt 0x1
	global_store_b128 v[68:69], v[128:131], off th:TH_STORE_NT
	s_wait_loadcnt 0x0
	global_store_b128 v[68:69], v[132:135], off offset:512 th:TH_STORE_NT
	s_wait_alu 0xfffe
	s_and_not1_b32 exec_lo, exec_lo, s19
	s_cbranch_execnz .LBB2_130
; %bb.131:                              ;   in Loop: Header=BB2_57 Depth=2
	s_or_b32 exec_lo, exec_lo, s19
.LBB2_132:                              ;   in Loop: Header=BB2_57 Depth=2
	s_wait_alu 0xfffe
	s_or_b32 exec_lo, exec_lo, s14
	v_dual_mov_b32 v9, 0 :: v_dual_lshlrev_b32 v66, 10, v9
	s_mov_b32 s13, 0
	s_mov_b32 s19, exec_lo
                                        ; implicit-def: $vgpr54
                                        ; implicit-def: $vgpr55
                                        ; implicit-def: $vgpr129
	s_delay_alu instid0(VALU_DEP_1)
	v_cmpx_ne_u32_e64 v3, v66
	s_cbranch_execz .LBB2_140
; %bb.133:                              ;   in Loop: Header=BB2_57 Depth=2
	v_lshlrev_b32_e32 v9, 5, v67
	v_sub_nc_u32_e32 v55, v3, v66
	s_mov_b32 s20, exec_lo
	s_delay_alu instid0(VALU_DEP_2) | instskip(NEXT) | instid1(VALU_DEP_2)
	v_sub_nc_u32_e32 v9, v114, v9
	v_ashrrev_i32_e32 v67, 31, v55
	s_delay_alu instid0(VALU_DEP_2) | instskip(NEXT) | instid1(VALU_DEP_2)
	v_ashrrev_i32_e32 v54, 31, v9
	v_lshrrev_b32_e32 v67, 23, v67
	s_delay_alu instid0(VALU_DEP_2) | instskip(NEXT) | instid1(VALU_DEP_2)
	v_lshrrev_b32_e32 v54, 27, v54
	v_add_nc_u32_e32 v128, v55, v67
	s_delay_alu instid0(VALU_DEP_2) | instskip(NEXT) | instid1(VALU_DEP_2)
	v_add_nc_u32_e32 v54, v9, v54
	v_and_b32_e32 v67, 0xfffffe00, v128
	v_ashrrev_i32_e32 v128, 9, v128
	s_delay_alu instid0(VALU_DEP_3) | instskip(NEXT) | instid1(VALU_DEP_3)
	v_and_b32_e32 v68, 0xffffffe0, v54
	v_sub_nc_u32_e32 v69, v55, v67
	v_ashrrev_i32_e32 v129, 5, v54
	s_delay_alu instid0(VALU_DEP_3) | instskip(NEXT) | instid1(VALU_DEP_3)
	v_sub_nc_u32_e32 v68, v9, v68
	v_cmp_lt_i32_e32 vcc_lo, 15, v69
	s_delay_alu instid0(VALU_DEP_2) | instskip(SKIP_2) | instid1(VALU_DEP_2)
	v_lshlrev_b32_e32 v9, 4, v68
	s_wait_alu 0xfffd
	v_add_co_ci_u32_e64 v128, null, 0, v128, vcc_lo
	v_lshl_add_u32 v54, v129, 9, v9
	s_delay_alu instid0(VALU_DEP_2) | instskip(NEXT) | instid1(VALU_DEP_2)
	v_sub_nc_u32_e32 v128, v128, v129
	v_sub_nc_u32_e32 v9, v55, v54
	s_delay_alu instid0(VALU_DEP_1)
	v_cmpx_lt_i32_e32 15, v9
	s_cbranch_execz .LBB2_137
; %bb.134:                              ;   in Loop: Header=BB2_57 Depth=2
	v_add_nc_u32_e32 v54, v54, v66
	s_mov_b32 s21, 0
	s_delay_alu instid0(VALU_DEP_1)
	v_ashrrev_i32_e32 v55, 31, v54
.LBB2_135:                              ;   Parent Loop BB2_47 Depth=1
                                        ;     Parent Loop BB2_57 Depth=2
                                        ; =>    This Inner Loop Header: Depth=3
	v_add_co_u32 v129, s13, v50, v54
	s_wait_alu 0xf1fe
	s_delay_alu instid0(VALU_DEP_2)
	v_add_co_ci_u32_e64 v130, null, v51, v55, s13
	v_sub_nc_u32_e32 v9, v9, v96
	v_add_co_u32 v133, s13, v52, v54
	global_load_b128 v[129:132], v[129:130], off th:TH_LOAD_NT
	s_wait_alu 0xf1ff
	v_add_co_ci_u32_e64 v134, null, v53, v55, s13
	v_cmp_gt_i32_e64 s13, 16, v9
	v_add_co_u32 v54, s14, v54, v96
	v_sub_nc_u32_e32 v128, v128, v81
	s_wait_alu 0xf1ff
	v_add_co_ci_u32_e64 v55, null, 0, v55, s14
	s_or_b32 s21, s13, s21
	s_wait_loadcnt 0x0
	global_store_b128 v[133:134], v[129:132], off th:TH_STORE_NT
	s_wait_alu 0xfffe
	s_and_not1_b32 exec_lo, exec_lo, s21
	s_cbranch_execnz .LBB2_135
; %bb.136:                              ;   in Loop: Header=BB2_57 Depth=2
	s_or_b32 exec_lo, exec_lo, s21
.LBB2_137:                              ;   in Loop: Header=BB2_57 Depth=2
	s_wait_alu 0xfffe
	s_or_b32 exec_lo, exec_lo, s20
	v_dual_mov_b32 v9, 0 :: v_dual_and_b32 v130, 15, v3
	s_mov_b32 s14, 0
	s_mov_b32 s20, exec_lo
                                        ; implicit-def: $vgpr55
                                        ; implicit-def: $vgpr129
	s_delay_alu instid0(VALU_DEP_1) | instskip(NEXT) | instid1(VALU_DEP_1)
	v_cndmask_b32_e32 v54, v69, v130, vcc_lo
	v_cmpx_ne_u32_e32 0, v54
	s_cbranch_execz .LBB2_139
; %bb.138:                              ;   in Loop: Header=BB2_57 Depth=2
	v_cmp_lt_i32_e64 s13, 0, v128
	s_mov_b32 s14, exec_lo
	s_wait_alu 0xf1ff
	v_cndmask_b32_e64 v9, 0, v81, s13
	s_delay_alu instid0(VALU_DEP_1) | instskip(NEXT) | instid1(VALU_DEP_1)
	v_sub_nc_u32_e32 v9, v9, v128
	v_lshl_add_u32 v55, v9, 5, v68
	v_sub_nc_u32_e32 v68, v69, v130
	s_delay_alu instid0(VALU_DEP_2) | instskip(NEXT) | instid1(VALU_DEP_1)
	v_ashrrev_i32_e32 v9, 31, v55
	v_lshrrev_b32_e32 v9, 27, v9
	s_delay_alu instid0(VALU_DEP_1) | instskip(NEXT) | instid1(VALU_DEP_1)
	v_dual_cndmask_b32 v68, 0, v68 :: v_dual_add_nc_u32 v69, v55, v9
	v_add3_u32 v9, v67, v66, v68
	s_delay_alu instid0(VALU_DEP_2)
	v_ashrrev_i32_e32 v129, 5, v69
.LBB2_139:                              ;   in Loop: Header=BB2_57 Depth=2
	s_wait_alu 0xfffe
	s_or_b32 exec_lo, exec_lo, s20
	s_delay_alu instid0(SALU_CYCLE_1)
	s_and_b32 s13, s14, exec_lo
.LBB2_140:                              ;   in Loop: Header=BB2_57 Depth=2
	s_wait_alu 0xfffe
	s_or_b32 exec_lo, exec_lo, s19
	s_and_saveexec_b32 s14, s13
	s_cbranch_execz .LBB2_149
.LBB2_141:                              ;   in Loop: Header=BB2_57 Depth=2
	v_ashrrev_i32_e32 v66, 31, v54
	v_ashrrev_i32_e32 v67, 31, v55
	s_mov_b32 s13, exec_lo
	s_delay_alu instid0(VALU_DEP_2) | instskip(NEXT) | instid1(VALU_DEP_2)
	v_lshrrev_b32_e32 v66, 24, v66
	v_lshrrev_b32_e32 v67, 27, v67
	s_delay_alu instid0(VALU_DEP_2) | instskip(NEXT) | instid1(VALU_DEP_1)
	v_add_nc_u32_e32 v66, v54, v66
	v_ashrrev_i32_e32 v68, 8, v66
	s_delay_alu instid0(VALU_DEP_1) | instskip(NEXT) | instid1(VALU_DEP_1)
	v_sub_nc_u32_e32 v66, v68, v129
	v_cmpx_lt_i32_e32 0, v66
	s_cbranch_execz .LBB2_145
; %bb.142:                              ;   in Loop: Header=BB2_57 Depth=2
	v_add_nc_u32_e32 v69, v55, v67
	v_lshlrev_b32_e32 v128, 8, v129
	s_mov_b32 s19, 0
	s_delay_alu instid0(VALU_DEP_2) | instskip(NEXT) | instid1(VALU_DEP_1)
	v_and_b32_e32 v69, 0xffffffe0, v69
	v_sub_nc_u32_e32 v69, v55, v69
	s_delay_alu instid0(VALU_DEP_1) | instskip(NEXT) | instid1(VALU_DEP_1)
	v_add3_u32 v69, v9, v69, v128
	v_ashrrev_i32_e32 v128, 31, v69
.LBB2_143:                              ;   Parent Loop BB2_47 Depth=1
                                        ;     Parent Loop BB2_57 Depth=2
                                        ; =>    This Inner Loop Header: Depth=3
	v_add_co_u32 v129, vcc_lo, v69, v50
	s_wait_alu 0xfffd
	s_delay_alu instid0(VALU_DEP_2)
	v_add_co_ci_u32_e64 v130, null, v128, v51, vcc_lo
	v_sub_nc_u32_e32 v66, v66, v81
	s_clause 0x7
	flat_load_u8 v131, v[129:130] th:TH_LOAD_NT
	flat_load_u8 v132, v[129:130] offset:32 th:TH_LOAD_NT
	flat_load_u8 v133, v[129:130] offset:64 th:TH_LOAD_NT
	;; [unrolled: 1-line block ×7, first 2 shown]
	v_add_co_u32 v129, vcc_lo, v69, v52
	s_wait_alu 0xfffd
	v_add_co_ci_u32_e64 v130, null, v128, v53, vcc_lo
	v_add_co_u32 v50, vcc_lo, v50, v97
	s_wait_alu 0xfffd
	v_add_co_ci_u32_e64 v51, null, 0, v51, vcc_lo
	;; [unrolled: 3-line block ×3, first 2 shown]
	v_cmp_gt_i32_e32 vcc_lo, 1, v66
	s_wait_loadcnt_dscnt 0x707
	flat_store_b8 v[129:130], v131 th:TH_STORE_NT
	s_wait_loadcnt_dscnt 0x607
	flat_store_b8 v[129:130], v132 offset:32 th:TH_STORE_NT
	s_wait_loadcnt_dscnt 0x507
	flat_store_b8 v[129:130], v133 offset:64 th:TH_STORE_NT
	;; [unrolled: 2-line block ×7, first 2 shown]
	s_wait_alu 0xfffe
	s_or_b32 s19, vcc_lo, s19
	s_wait_alu 0xfffe
	s_and_not1_b32 exec_lo, exec_lo, s19
	s_cbranch_execnz .LBB2_143
; %bb.144:                              ;   in Loop: Header=BB2_57 Depth=2
	s_or_b32 exec_lo, exec_lo, s19
.LBB2_145:                              ;   in Loop: Header=BB2_57 Depth=2
	s_wait_alu 0xfffe
	s_or_b32 exec_lo, exec_lo, s13
	v_lshlrev_b32_e32 v50, 8, v68
	s_delay_alu instid0(VALU_DEP_1)
	v_cmp_ne_u32_e32 vcc_lo, v54, v50
	s_and_b32 exec_lo, exec_lo, vcc_lo
	s_cbranch_execz .LBB2_149
; %bb.146:                              ;   in Loop: Header=BB2_57 Depth=2
	v_add_nc_u32_e32 v51, v55, v67
	v_lshlrev_b32_e32 v52, 5, v66
	s_delay_alu instid0(VALU_DEP_2) | instskip(NEXT) | instid1(VALU_DEP_1)
	v_and_b32_e32 v51, 0xffffffe0, v51
	v_sub_nc_u32_e32 v51, v55, v51
	s_delay_alu instid0(VALU_DEP_1) | instskip(NEXT) | instid1(VALU_DEP_1)
	v_sub_nc_u32_e32 v51, v51, v52
	v_add_nc_u32_e32 v53, v50, v51
	s_delay_alu instid0(VALU_DEP_1) | instskip(NEXT) | instid1(VALU_DEP_1)
	v_sub_nc_u32_e32 v52, v54, v53
	v_cmp_lt_i32_e32 vcc_lo, 0, v52
	s_and_b32 exec_lo, exec_lo, vcc_lo
	s_cbranch_execz .LBB2_149
; %bb.147:                              ;   in Loop: Header=BB2_57 Depth=2
	s_trap 2
	ds_load_b64 v[50:51], v0
	v_add_nc_u32_e32 v9, v53, v9
	s_mov_b32 s19, 0
	s_delay_alu instid0(VALU_DEP_1)
	v_ashrrev_i32_e32 v53, 31, v9
.LBB2_148:                              ;   Parent Loop BB2_47 Depth=1
                                        ;     Parent Loop BB2_57 Depth=2
                                        ; =>    This Inner Loop Header: Depth=3
	s_wait_dscnt 0x0
	v_add_co_u32 v54, vcc_lo, v50, v9
	s_wait_alu 0xfffd
	s_delay_alu instid0(VALU_DEP_2)
	v_add_co_ci_u32_e64 v55, null, v51, v53, vcc_lo
	v_sub_nc_u32_e32 v52, v52, v82
	v_add_co_u32 v9, s13, v9, v82
	flat_load_u8 v66, v[54:55] th:TH_LOAD_NT
	s_wait_alu 0xf1ff
	v_add_co_ci_u32_e64 v53, null, 0, v53, s13
	v_cmp_gt_i32_e32 vcc_lo, 1, v52
	s_wait_alu 0xfffe
	s_or_b32 s19, vcc_lo, s19
	s_wait_loadcnt_dscnt 0x0
	flat_store_b8 v[54:55], v66 th:TH_STORE_NT
	s_wait_alu 0xfffe
	s_and_not1_b32 exec_lo, exec_lo, s19
	s_cbranch_execnz .LBB2_148
.LBB2_149:                              ;   in Loop: Header=BB2_57 Depth=2
	s_wait_alu 0xfffe
	s_or_b32 exec_lo, exec_lo, s14
	v_cmp_lt_i32_e64 s13, 0, v3
	s_and_saveexec_b32 s14, s2
	s_cbranch_execz .LBB2_168
.LBB2_150:                              ;   in Loop: Header=BB2_57 Depth=2
	s_and_saveexec_b32 s19, s3
	s_wait_alu 0xfffe
	s_xor_b32 s19, exec_lo, s19
	s_cbranch_execz .LBB2_165
; %bb.151:                              ;   in Loop: Header=BB2_57 Depth=2
	s_and_saveexec_b32 s20, s6
	s_cbranch_execz .LBB2_164
; %bb.152:                              ;   in Loop: Header=BB2_57 Depth=2
	s_mov_b32 s22, exec_lo
	s_mov_b32 s21, exec_lo
	s_wait_alu 0xfffe
	v_mbcnt_lo_u32_b32 v3, s22, 0
	s_wait_storecnt 0x0
	s_wait_loadcnt_dscnt 0x0
	global_inv scope:SCOPE_DEV
	v_cmpx_eq_u32_e32 0, v3
	s_cbranch_execz .LBB2_154
; %bb.153:                              ;   in Loop: Header=BB2_57 Depth=2
	s_bcnt1_i32_b32 s22, s22
	s_wait_alu 0xfffe
	v_dual_mov_b32 v51, v2 :: v_dual_mov_b32 v50, s22
	s_wait_loadcnt 0x0
	ds_add_u64 v0, v[50:51]
	s_trap 2
.LBB2_154:                              ;   in Loop: Header=BB2_57 Depth=2
	s_or_b32 exec_lo, exec_lo, s21
	s_trap 2
	ds_load_b64 v[50:51], v0
	s_wait_dscnt 0x0
	global_inv scope:SCOPE_SE
	v_add_co_u32 v12, vcc_lo, v12, v81
	s_wait_alu 0xfffd
	v_add_co_ci_u32_e64 v13, null, 0, v13, vcc_lo
	s_mov_b32 s21, exec_lo
	v_cmpx_lt_u64_e64 v[50:51], v[12:13]
	s_cbranch_execz .LBB2_163
; %bb.155:                              ;   in Loop: Header=BB2_57 Depth=2
	s_mov_b32 s22, 0
	s_mov_b32 s25, 0
                                        ; implicit-def: $sgpr23
                                        ; implicit-def: $sgpr24
	s_branch .LBB2_157
.LBB2_156:                              ;   in Loop: Header=BB2_157 Depth=3
	s_wait_alu 0xfffe
	s_or_b32 exec_lo, exec_lo, s27
	s_delay_alu instid0(SALU_CYCLE_1)
	s_and_b32 s26, exec_lo, s28
	s_wait_alu 0xfffe
	s_or_b32 s22, s26, s22
	s_and_not1_b32 s23, s23, exec_lo
	s_and_b32 s26, s24, exec_lo
	s_wait_alu 0xfffe
	s_or_b32 s23, s23, s26
	s_and_not1_b32 exec_lo, exec_lo, s22
	s_cbranch_execz .LBB2_161
.LBB2_157:                              ;   Parent Loop BB2_47 Depth=1
                                        ;     Parent Loop BB2_57 Depth=2
                                        ; =>    This Inner Loop Header: Depth=3
	s_wait_alu 0xfffe
	s_add_co_i32 s25, s25, 1
	s_wait_alu 0xfffe
	s_cmp_lg_u32 s25, 0x2710
	s_cselect_b32 s26, -1, 0
	s_wait_alu 0xfffe
	s_and_b32 vcc_lo, exec_lo, s26
	s_wait_alu 0xfffe
	s_cbranch_vccz .LBB2_159
; %bb.158:                              ;   in Loop: Header=BB2_157 Depth=3
	s_mov_b32 s28, -1
	s_or_b32 s24, s24, exec_lo
	s_and_saveexec_b32 s27, s26
	s_cbranch_execz .LBB2_156
	s_branch .LBB2_160
.LBB2_159:                              ;   in Loop: Header=BB2_157 Depth=3
	s_trap 2
	ds_load_b64 v[50:51], v0
	s_and_not1_b32 s26, s26, exec_lo
	s_mov_b32 s25, 0
	s_wait_loadcnt_dscnt 0x0
	flat_load_b32 v3, v[50:51] scope:SCOPE_SYS
	s_wait_loadcnt_dscnt 0x0
	global_inv scope:SCOPE_SYS
	v_cmp_eq_u32_e32 vcc_lo, 0, v3
	s_and_b32 s27, vcc_lo, exec_lo
	s_wait_alu 0xfffe
	s_or_b32 s26, s26, s27
	s_mov_b32 s28, -1
	s_or_b32 s24, s24, exec_lo
	s_wait_alu 0xfffe
	s_and_saveexec_b32 s27, s26
	s_cbranch_execz .LBB2_156
.LBB2_160:                              ;   in Loop: Header=BB2_157 Depth=3
	s_sleep 1
	s_trap 2
	ds_load_b64 v[50:51], v0
	s_wait_dscnt 0x0
	global_inv scope:SCOPE_SE
	s_wait_alu 0xfffe
	s_and_not1_b32 s24, s24, exec_lo
	v_cmp_ge_u64_e32 vcc_lo, v[50:51], v[12:13]
	s_or_not1_b32 s28, vcc_lo, exec_lo
	s_branch .LBB2_156
.LBB2_161:                              ;   in Loop: Header=BB2_57 Depth=2
	s_or_b32 exec_lo, exec_lo, s22
	s_wait_alu 0xfffe
	s_and_saveexec_b32 s22, s23
	s_wait_alu 0xfffe
	s_xor_b32 s22, exec_lo, s22
	s_cbranch_execz .LBB2_163
; %bb.162:                              ;   in Loop: Header=BB2_57 Depth=2
	ds_store_b32 v0, v84
	s_trap 2
.LBB2_163:                              ;   in Loop: Header=BB2_57 Depth=2
	s_wait_alu 0xfffe
	s_or_b32 exec_lo, exec_lo, s21
	;;#ASMSTART
	s_wakeup
	;;#ASMEND
.LBB2_164:                              ;   in Loop: Header=BB2_57 Depth=2
	s_wait_alu 0xfffe
	s_or_b32 exec_lo, exec_lo, s20
.LBB2_165:                              ;   in Loop: Header=BB2_57 Depth=2
	s_wait_alu 0xfffe
	s_and_not1_saveexec_b32 s19, s19
	s_cbranch_execz .LBB2_167
; %bb.166:                              ;   in Loop: Header=BB2_57 Depth=2
	s_wait_storecnt 0x0
	s_wait_loadcnt_dscnt 0x0
	global_inv scope:SCOPE_DEV
	s_barrier_signal -1
	s_barrier_wait -1
.LBB2_167:                              ;   in Loop: Header=BB2_57 Depth=2
	s_wait_alu 0xfffe
	s_or_b32 exec_lo, exec_lo, s19
.LBB2_168:                              ;   in Loop: Header=BB2_57 Depth=2
	s_wait_alu 0xfffe
	s_or_b32 exec_lo, exec_lo, s14
	v_and_b32_e32 v3, 16, v70
	s_and_saveexec_b32 s14, s7
	s_wait_alu 0xfffe
	s_xor_b32 s14, exec_lo, s14
	s_cbranch_execz .LBB2_172
; %bb.169:                              ;   in Loop: Header=BB2_57 Depth=2
	v_and_b32_e32 v3, 16, v70
	s_delay_alu instid0(VALU_DEP_1)
	v_cmp_ne_u32_e32 vcc_lo, 0, v3
	v_and_b32_e32 v3, 16, v70
	s_and_b32 s19, vcc_lo, s13
	s_wait_alu 0xfffe
	s_and_saveexec_b32 s13, s19
	s_cbranch_execz .LBB2_171
; %bb.170:                              ;   in Loop: Header=BB2_57 Depth=2
	v_mov_b32_e32 v3, 1
	global_wb scope:SCOPE_SYS
	s_wait_storecnt 0x0
	s_wait_loadcnt_dscnt 0x0
	global_inv scope:SCOPE_SYS
.LBB2_171:                              ;   in Loop: Header=BB2_57 Depth=2
	s_wait_alu 0xfffe
	s_or_b32 exec_lo, exec_lo, s13
.LBB2_172:                              ;   in Loop: Header=BB2_57 Depth=2
	s_wait_alu 0xfffe
	s_and_not1_saveexec_b32 s13, s14
	s_cbranch_execz .LBB2_191
; %bb.173:                              ;   in Loop: Header=BB2_57 Depth=2
	s_and_saveexec_b32 s14, s3
	s_wait_alu 0xfffe
	s_xor_b32 s14, exec_lo, s14
	s_cbranch_execz .LBB2_188
; %bb.174:                              ;   in Loop: Header=BB2_57 Depth=2
	s_and_saveexec_b32 s19, s6
	s_cbranch_execz .LBB2_187
; %bb.175:                              ;   in Loop: Header=BB2_57 Depth=2
	s_mov_b32 s21, exec_lo
	s_mov_b32 s20, exec_lo
	s_wait_alu 0xfffe
	v_mbcnt_lo_u32_b32 v9, s21, 0
	;;#ASMSTART
	s_waitcnt lgkmcnt(0) vmcnt(0)
	;;#ASMEND
	s_delay_alu instid0(VALU_DEP_1)
	v_cmpx_eq_u32_e32 0, v9
	s_cbranch_execz .LBB2_177
; %bb.176:                              ;   in Loop: Header=BB2_57 Depth=2
	s_bcnt1_i32_b32 s21, s21
	s_wait_alu 0xfffe
	v_dual_mov_b32 v51, v2 :: v_dual_mov_b32 v50, s21
	s_wait_storecnt 0x0
	s_wait_loadcnt_dscnt 0x0
	ds_add_u64 v0, v[50:51]
	s_trap 2
.LBB2_177:                              ;   in Loop: Header=BB2_57 Depth=2
	s_or_b32 exec_lo, exec_lo, s20
	s_trap 2
	ds_load_b64 v[50:51], v0
	s_wait_dscnt 0x0
	global_inv scope:SCOPE_SE
	v_add_co_u32 v12, vcc_lo, v12, v81
	s_wait_alu 0xfffd
	v_add_co_ci_u32_e64 v13, null, 0, v13, vcc_lo
	s_mov_b32 s20, exec_lo
	v_cmpx_lt_u64_e64 v[50:51], v[12:13]
	s_cbranch_execz .LBB2_186
; %bb.178:                              ;   in Loop: Header=BB2_57 Depth=2
	s_mov_b32 s21, 0
	s_mov_b32 s24, 0
                                        ; implicit-def: $sgpr22
                                        ; implicit-def: $sgpr23
	s_branch .LBB2_180
.LBB2_179:                              ;   in Loop: Header=BB2_180 Depth=3
	s_wait_alu 0xfffe
	s_or_b32 exec_lo, exec_lo, s26
	s_delay_alu instid0(SALU_CYCLE_1)
	s_and_b32 s25, exec_lo, s27
	s_wait_alu 0xfffe
	s_or_b32 s21, s25, s21
	s_and_not1_b32 s22, s22, exec_lo
	s_and_b32 s25, s23, exec_lo
	s_wait_alu 0xfffe
	s_or_b32 s22, s22, s25
	s_and_not1_b32 exec_lo, exec_lo, s21
	s_cbranch_execz .LBB2_184
.LBB2_180:                              ;   Parent Loop BB2_47 Depth=1
                                        ;     Parent Loop BB2_57 Depth=2
                                        ; =>    This Inner Loop Header: Depth=3
	s_wait_alu 0xfffe
	s_add_co_i32 s24, s24, 1
	s_wait_alu 0xfffe
	s_cmp_lg_u32 s24, 0x2710
	s_cselect_b32 s25, -1, 0
	s_wait_alu 0xfffe
	s_and_b32 vcc_lo, exec_lo, s25
	s_wait_alu 0xfffe
	s_cbranch_vccz .LBB2_182
; %bb.181:                              ;   in Loop: Header=BB2_180 Depth=3
	s_mov_b32 s27, -1
	s_or_b32 s23, s23, exec_lo
	s_and_saveexec_b32 s26, s25
	s_cbranch_execz .LBB2_179
	s_branch .LBB2_183
.LBB2_182:                              ;   in Loop: Header=BB2_180 Depth=3
	s_trap 2
	ds_load_b64 v[50:51], v0
	s_and_not1_b32 s25, s25, exec_lo
	s_mov_b32 s24, 0
	s_wait_storecnt 0x0
	s_wait_loadcnt_dscnt 0x0
	flat_load_b32 v9, v[50:51] scope:SCOPE_SYS
	s_wait_loadcnt_dscnt 0x0
	global_inv scope:SCOPE_SYS
	v_cmp_eq_u32_e32 vcc_lo, 0, v9
	s_and_b32 s26, vcc_lo, exec_lo
	s_wait_alu 0xfffe
	s_or_b32 s25, s25, s26
	s_mov_b32 s27, -1
	s_or_b32 s23, s23, exec_lo
	s_wait_alu 0xfffe
	s_and_saveexec_b32 s26, s25
	s_cbranch_execz .LBB2_179
.LBB2_183:                              ;   in Loop: Header=BB2_180 Depth=3
	s_sleep 1
	s_trap 2
	ds_load_b64 v[50:51], v0
	s_wait_dscnt 0x0
	global_inv scope:SCOPE_SE
	s_wait_alu 0xfffe
	s_and_not1_b32 s23, s23, exec_lo
	v_cmp_ge_u64_e32 vcc_lo, v[50:51], v[12:13]
	s_or_not1_b32 s27, vcc_lo, exec_lo
	s_branch .LBB2_179
.LBB2_184:                              ;   in Loop: Header=BB2_57 Depth=2
	s_or_b32 exec_lo, exec_lo, s21
	s_wait_alu 0xfffe
	s_and_saveexec_b32 s21, s22
	s_wait_alu 0xfffe
	s_xor_b32 s21, exec_lo, s21
	s_cbranch_execz .LBB2_186
; %bb.185:                              ;   in Loop: Header=BB2_57 Depth=2
	ds_store_b32 v0, v84
	s_trap 2
.LBB2_186:                              ;   in Loop: Header=BB2_57 Depth=2
	s_wait_alu 0xfffe
	s_or_b32 exec_lo, exec_lo, s20
	;;#ASMSTART
	s_wakeup
	;;#ASMEND
.LBB2_187:                              ;   in Loop: Header=BB2_57 Depth=2
	s_wait_alu 0xfffe
	s_or_b32 exec_lo, exec_lo, s19
.LBB2_188:                              ;   in Loop: Header=BB2_57 Depth=2
	s_wait_alu 0xfffe
	s_and_not1_saveexec_b32 s14, s14
	s_cbranch_execz .LBB2_190
; %bb.189:                              ;   in Loop: Header=BB2_57 Depth=2
	;;#ASMSTART
	s_waitcnt lgkmcnt(0) vmcnt(0)
	;;#ASMEND
	s_barrier_signal -1
	s_barrier_wait -1
.LBB2_190:                              ;   in Loop: Header=BB2_57 Depth=2
	s_wait_alu 0xfffe
	s_or_b32 exec_lo, exec_lo, s14
.LBB2_191:                              ;   in Loop: Header=BB2_57 Depth=2
	s_wait_alu 0xfffe
	s_or_b32 exec_lo, exec_lo, s13
	s_delay_alu instid0(SALU_CYCLE_1)
	s_mov_b32 s13, exec_lo
	v_cmpx_ne_u32_e32 0, v3
	s_cbranch_execz .LBB2_56
; %bb.192:                              ;   in Loop: Header=BB2_57 Depth=2
	s_and_saveexec_b32 s14, s5
	s_cbranch_execz .LBB2_55
; %bb.193:                              ;   in Loop: Header=BB2_57 Depth=2
	global_wb scope:SCOPE_SYS
	s_wait_storecnt 0x0
	s_wait_loadcnt_dscnt 0x0
	flat_store_b32 v[24:25], v84 scope:SCOPE_SYS
	s_branch .LBB2_55
.LBB2_194:                              ;   in Loop: Header=BB2_47 Depth=1
	s_or_b32 exec_lo, exec_lo, s16
.LBB2_195:                              ;   in Loop: Header=BB2_47 Depth=1
	s_wait_alu 0xfffe
	s_or_b32 exec_lo, exec_lo, s15
	s_delay_alu instid0(SALU_CYCLE_1)
	s_mov_b32 s14, exec_lo
	v_cmpx_gt_i32_e32 2, v3
	s_cbranch_execz .LBB2_267
; %bb.196:                              ;   in Loop: Header=BB2_47 Depth=1
	v_cmp_eq_u32_e64 s16, 0, v3
	s_mov_b32 s15, 0
	s_branch .LBB2_199
.LBB2_197:                              ;   in Loop: Header=BB2_199 Depth=2
	s_wait_alu 0xfffe
	s_or_b32 exec_lo, exec_lo, s16
	v_add_co_u32 v38, vcc_lo, v38, 2
	s_wait_alu 0xfffd
	v_add_co_ci_u32_e64 v39, null, 0, v39, vcc_lo
	global_wb scope:SCOPE_SYS
	s_wait_storecnt 0x0
	s_wait_loadcnt_dscnt 0x0
	flat_store_b64 v[20:21], v[38:39] scope:SCOPE_SYS
.LBB2_198:                              ;   in Loop: Header=BB2_199 Depth=2
	s_wait_alu 0xfffe
	s_or_b32 exec_lo, exec_lo, s13
	v_add_nc_u32_e32 v65, v8, v65
	s_mov_b32 s16, 0
	s_and_not1_b32 exec_lo, exec_lo, s15
	s_cbranch_execz .LBB2_266
.LBB2_199:                              ;   Parent Loop BB2_47 Depth=1
                                        ; =>  This Loop Header: Depth=2
                                        ;       Child Loop BB2_205 Depth 3
                                        ;       Child Loop BB2_229 Depth 3
	;; [unrolled: 1-line block ×3, first 2 shown]
	s_delay_alu instid0(VALU_DEP_1) | instskip(SKIP_2) | instid1(VALU_DEP_2)
	v_sub_nc_u32_e32 v3, v64, v65
	v_and_b32_e32 v9, 8, v70
	s_mov_b32 s17, exec_lo
	v_min_i32_e32 v8, v8, v3
	s_delay_alu instid0(VALU_DEP_2)
	v_cmpx_ne_u32_e32 0, v9
	s_cbranch_execz .LBB2_221
; %bb.200:                              ;   in Loop: Header=BB2_199 Depth=2
	v_add_co_u32 v50, vcc_lo, v26, 8
	s_wait_alu 0xfffd
	v_add_co_ci_u32_e64 v51, null, 0, v27, vcc_lo
	v_add_co_u32 v10, vcc_lo, v38, 2
	s_wait_alu 0xfffd
	v_add_co_ci_u32_e64 v11, null, 0, v39, vcc_lo
	s_mov_b32 s18, exec_lo
	v_cmpx_lt_u64_e64 v[50:51], v[10:11]
	s_cbranch_execz .LBB2_212
; %bb.201:                              ;   in Loop: Header=BB2_199 Depth=2
	v_and_b32_e32 v3, 64, v70
	s_mov_b32 s19, 0
	s_mov_b32 s23, 0
                                        ; implicit-def: $sgpr20
                                        ; implicit-def: $sgpr21
                                        ; implicit-def: $sgpr22
	s_delay_alu instid0(VALU_DEP_1)
	v_cmp_eq_u32_e32 vcc_lo, 0, v3
	s_branch .LBB2_205
.LBB2_202:                              ;   in Loop: Header=BB2_205 Depth=3
	v_add_co_u32 v50, s13, v26, 8
	s_wait_alu 0xf1ff
	v_add_co_ci_u32_e64 v51, null, 0, v27, s13
	s_or_b32 s26, s26, exec_lo
	v_cmp_ge_u64_e64 s13, v[50:51], v[10:11]
	s_or_not1_b32 s25, s13, exec_lo
.LBB2_203:                              ;   in Loop: Header=BB2_205 Depth=3
	s_wait_alu 0xfffe
	s_or_b32 exec_lo, exec_lo, s28
	s_delay_alu instid0(SALU_CYCLE_1)
	s_and_not1_b32 s13, s22, exec_lo
	s_and_b32 s22, s26, exec_lo
	s_and_not1_b32 s21, s21, exec_lo
	s_and_b32 s25, s25, exec_lo
	s_wait_alu 0xfffe
	s_or_b32 s22, s13, s22
	s_or_b32 s21, s21, s25
.LBB2_204:                              ;   in Loop: Header=BB2_205 Depth=3
	s_wait_alu 0xfffe
	s_or_b32 exec_lo, exec_lo, s24
	s_delay_alu instid0(SALU_CYCLE_1)
	s_and_b32 s13, exec_lo, s21
	s_wait_alu 0xfffe
	s_or_b32 s19, s13, s19
	s_and_not1_b32 s13, s20, exec_lo
	s_and_b32 s20, s22, exec_lo
	s_wait_alu 0xfffe
	s_or_b32 s20, s13, s20
	s_and_not1_b32 exec_lo, exec_lo, s19
	s_cbranch_execz .LBB2_209
.LBB2_205:                              ;   Parent Loop BB2_47 Depth=1
                                        ;     Parent Loop BB2_199 Depth=2
                                        ; =>    This Inner Loop Header: Depth=3
	s_sleep 1
	flat_load_b64 v[26:27], v[20:21] scope:SCOPE_SYS
	s_wait_loadcnt_dscnt 0x0
	global_inv scope:SCOPE_SYS
	s_or_b32 s22, s22, exec_lo
	s_or_b32 s21, s21, exec_lo
                                        ; implicit-def: $vgpr3
	s_and_saveexec_b32 s24, vcc_lo
	s_cbranch_execz .LBB2_204
; %bb.206:                              ;   in Loop: Header=BB2_205 Depth=3
	s_wait_alu 0xfffe
	s_cmp_lt_i32 s23, 0x270f
	s_mov_b32 s25, -1
	s_cselect_b32 s27, -1, 0
	s_cmp_gt_i32 s23, 0x270e
	s_cbranch_scc0 .LBB2_208
; %bb.207:                              ;   in Loop: Header=BB2_205 Depth=3
	s_trap 2
	ds_load_b64 v[50:51], v0
	s_wait_alu 0xfffe
	s_and_not1_b32 s23, s27, exec_lo
	s_mov_b32 s26, 0
	s_wait_storecnt 0x0
	s_wait_loadcnt_dscnt 0x0
	flat_load_b32 v3, v[50:51] scope:SCOPE_SYS
	s_wait_loadcnt_dscnt 0x0
	global_inv scope:SCOPE_SYS
	v_cmp_eq_u32_e64 s13, 0, v3
	s_and_b32 s13, s13, exec_lo
	s_wait_alu 0xfffe
	s_or_b32 s27, s23, s13
	s_mov_b32 s23, 0
	s_wait_alu 0xfffe
	s_and_saveexec_b32 s28, s27
	s_cbranch_execz .LBB2_203
	s_branch .LBB2_202
.LBB2_208:                              ;   in Loop: Header=BB2_205 Depth=3
	s_add_co_i32 s23, s23, 1
	s_mov_b32 s26, -1
                                        ; implicit-def: $vgpr3
	s_wait_alu 0xfffe
	s_and_saveexec_b32 s28, s27
	s_cbranch_execz .LBB2_203
	s_branch .LBB2_202
.LBB2_209:                              ;   in Loop: Header=BB2_199 Depth=2
	s_or_b32 exec_lo, exec_lo, s19
	s_wait_alu 0xfffe
	s_xor_b32 s13, s20, -1
	s_wait_alu 0xfffe
	s_and_saveexec_b32 s19, s13
	s_wait_alu 0xfffe
	s_xor_b32 s13, exec_lo, s19
	s_cbranch_execz .LBB2_211
; %bb.210:                              ;   in Loop: Header=BB2_199 Depth=2
	v_or_b32_e32 v70, 64, v70
	s_wait_loadcnt 0x0
	s_wait_storecnt 0x0
	ds_store_b32 v0, v3
	s_trap 2
.LBB2_211:                              ;   in Loop: Header=BB2_199 Depth=2
	s_wait_alu 0xfffe
	s_or_b32 exec_lo, exec_lo, s13
.LBB2_212:                              ;   in Loop: Header=BB2_199 Depth=2
	s_wait_alu 0xfffe
	s_or_b32 exec_lo, exec_lo, s18
	v_and_b32_e32 v3, 0x100, v70
	s_mov_b32 s13, -1
	;;#ASMSTART
	s_wakeup
	;;#ASMEND
	s_delay_alu instid0(VALU_DEP_1)
	v_cmp_ne_u32_e32 vcc_lo, 0, v3
	v_and_b32_e32 v3, 7, v38
                                        ; implicit-def: $vgpr38_vgpr39
	s_and_saveexec_b32 s18, vcc_lo
	s_cbranch_execz .LBB2_216
; %bb.213:                              ;   in Loop: Header=BB2_199 Depth=2
	s_delay_alu instid0(VALU_DEP_1)
	v_mad_co_u64_u32 v[50:51], null, v3, 24, v[6:7]
	v_ashrrev_i32_e32 v9, 31, v8
	flat_load_b32 v38, v[50:51]
	flat_store_b64 v[50:51], v[8:9] offset:8
	s_wait_loadcnt_dscnt 0x1
	v_cmp_eq_u32_e64 s13, 1, v38
	v_cmp_ne_u32_e32 vcc_lo, 1, v38
                                        ; implicit-def: $vgpr38_vgpr39
	s_wait_alu 0xfffe
	s_and_saveexec_b32 s19, s13
	s_cbranch_execz .LBB2_215
; %bb.214:                              ;   in Loop: Header=BB2_199 Depth=2
	flat_load_b32 v38, v[50:51] offset:4 scope:SCOPE_SYS
	s_wait_loadcnt_dscnt 0x0
	v_ashrrev_i32_e32 v39, 31, v38
.LBB2_215:                              ;   in Loop: Header=BB2_199 Depth=2
	s_wait_alu 0xfffe
	s_or_b32 exec_lo, exec_lo, s19
	s_delay_alu instid0(SALU_CYCLE_1)
	s_or_not1_b32 s13, vcc_lo, exec_lo
.LBB2_216:                              ;   in Loop: Header=BB2_199 Depth=2
	s_wait_alu 0xfffe
	s_or_b32 exec_lo, exec_lo, s18
	s_and_saveexec_b32 s18, s13
; %bb.217:                              ;   in Loop: Header=BB2_199 Depth=2
	v_mad_co_i64_i32 v[38:39], null, v3, v71, 0
; %bb.218:                              ;   in Loop: Header=BB2_199 Depth=2
	s_wait_alu 0xfffe
	s_or_b32 exec_lo, exec_lo, s18
	s_delay_alu instid0(VALU_DEP_1) | instskip(SKIP_2) | instid1(VALU_DEP_3)
	v_add_co_u32 v38, vcc_lo, v22, v38
	v_and_b32_e32 v3, 0x2000, v70
	s_wait_alu 0xfffd
	v_add_co_ci_u32_e64 v39, null, v23, v39, vcc_lo
	s_mov_b32 s13, exec_lo
	ds_store_b64 v0, v[38:39] offset:784
	v_cmpx_ne_u32_e32 0, v3
	s_cbranch_execz .LBB2_220
; %bb.219:                              ;   in Loop: Header=BB2_199 Depth=2
	ds_load_b64 v[38:39], v0 offset:872
	s_wait_dscnt 0x0
	v_add_co_u32 v38, vcc_lo, v38, 1
	s_wait_alu 0xfffd
	v_add_co_ci_u32_e64 v39, null, 0, v39, vcc_lo
	ds_store_b64 v0, v[38:39] offset:872
.LBB2_220:                              ;   in Loop: Header=BB2_199 Depth=2
	s_wait_alu 0xfffe
	s_or_b32 exec_lo, exec_lo, s13
	v_dual_mov_b32 v39, v11 :: v_dual_mov_b32 v38, v10
.LBB2_221:                              ;   in Loop: Header=BB2_199 Depth=2
	s_wait_alu 0xfffe
	s_or_b32 exec_lo, exec_lo, s17
	s_xor_b32 s13, s16, -1
	s_wait_alu 0xfffe
	s_and_b32 s13, exec_lo, s13
	s_wait_alu 0xfffe
	s_or_b32 s15, s13, s15
	s_and_saveexec_b32 s13, s2
	s_cbranch_execz .LBB2_240
; %bb.222:                              ;   in Loop: Header=BB2_199 Depth=2
	s_and_saveexec_b32 s16, s3
	s_wait_alu 0xfffe
	s_xor_b32 s16, exec_lo, s16
	s_cbranch_execz .LBB2_237
; %bb.223:                              ;   in Loop: Header=BB2_199 Depth=2
	s_and_saveexec_b32 s17, s6
	s_cbranch_execz .LBB2_236
; %bb.224:                              ;   in Loop: Header=BB2_199 Depth=2
	s_mov_b32 s19, exec_lo
	s_mov_b32 s18, exec_lo
	s_wait_alu 0xfffe
	v_mbcnt_lo_u32_b32 v3, s19, 0
	s_wait_storecnt 0x0
	s_wait_loadcnt_dscnt 0x0
	global_inv scope:SCOPE_DEV
	v_cmpx_eq_u32_e32 0, v3
	s_cbranch_execz .LBB2_226
; %bb.225:                              ;   in Loop: Header=BB2_199 Depth=2
	s_bcnt1_i32_b32 s19, s19
	s_wait_alu 0xfffe
	v_dual_mov_b32 v10, v2 :: v_dual_mov_b32 v9, s19
	s_wait_loadcnt 0x0
	ds_add_u64 v0, v[9:10]
	s_trap 2
.LBB2_226:                              ;   in Loop: Header=BB2_199 Depth=2
	s_or_b32 exec_lo, exec_lo, s18
	s_trap 2
	ds_load_b64 v[9:10], v0
	s_wait_dscnt 0x0
	global_inv scope:SCOPE_SE
	v_add_co_u32 v12, vcc_lo, v12, v81
	s_wait_alu 0xfffd
	v_add_co_ci_u32_e64 v13, null, 0, v13, vcc_lo
	s_mov_b32 s18, exec_lo
	v_cmpx_lt_u64_e64 v[9:10], v[12:13]
	s_cbranch_execz .LBB2_235
; %bb.227:                              ;   in Loop: Header=BB2_199 Depth=2
	s_mov_b32 s19, 0
	s_mov_b32 s22, 0
                                        ; implicit-def: $sgpr20
                                        ; implicit-def: $sgpr21
	s_branch .LBB2_229
.LBB2_228:                              ;   in Loop: Header=BB2_229 Depth=3
	s_wait_alu 0xfffe
	s_or_b32 exec_lo, exec_lo, s24
	s_delay_alu instid0(SALU_CYCLE_1)
	s_and_b32 s23, exec_lo, s25
	s_wait_alu 0xfffe
	s_or_b32 s19, s23, s19
	s_and_not1_b32 s20, s20, exec_lo
	s_and_b32 s23, s21, exec_lo
	s_wait_alu 0xfffe
	s_or_b32 s20, s20, s23
	s_and_not1_b32 exec_lo, exec_lo, s19
	s_cbranch_execz .LBB2_233
.LBB2_229:                              ;   Parent Loop BB2_47 Depth=1
                                        ;     Parent Loop BB2_199 Depth=2
                                        ; =>    This Inner Loop Header: Depth=3
	s_wait_alu 0xfffe
	s_add_co_i32 s22, s22, 1
	s_wait_alu 0xfffe
	s_cmp_lg_u32 s22, 0x2710
	s_cselect_b32 s23, -1, 0
	s_wait_alu 0xfffe
	s_and_b32 vcc_lo, exec_lo, s23
	s_wait_alu 0xfffe
	s_cbranch_vccz .LBB2_231
; %bb.230:                              ;   in Loop: Header=BB2_229 Depth=3
	s_mov_b32 s25, -1
	s_or_b32 s21, s21, exec_lo
	s_and_saveexec_b32 s24, s23
	s_cbranch_execz .LBB2_228
	s_branch .LBB2_232
.LBB2_231:                              ;   in Loop: Header=BB2_229 Depth=3
	s_trap 2
	ds_load_b64 v[9:10], v0
	s_and_not1_b32 s23, s23, exec_lo
	s_mov_b32 s22, 0
	s_wait_loadcnt_dscnt 0x0
	flat_load_b32 v3, v[9:10] scope:SCOPE_SYS
	s_wait_loadcnt_dscnt 0x0
	global_inv scope:SCOPE_SYS
	v_cmp_eq_u32_e32 vcc_lo, 0, v3
	s_and_b32 s24, vcc_lo, exec_lo
	s_wait_alu 0xfffe
	s_or_b32 s23, s23, s24
	s_mov_b32 s25, -1
	s_or_b32 s21, s21, exec_lo
	s_wait_alu 0xfffe
	s_and_saveexec_b32 s24, s23
	s_cbranch_execz .LBB2_228
.LBB2_232:                              ;   in Loop: Header=BB2_229 Depth=3
	s_sleep 1
	s_trap 2
	ds_load_b64 v[9:10], v0
	s_wait_dscnt 0x0
	global_inv scope:SCOPE_SE
	s_wait_alu 0xfffe
	s_and_not1_b32 s21, s21, exec_lo
	v_cmp_ge_u64_e32 vcc_lo, v[9:10], v[12:13]
	s_or_not1_b32 s25, vcc_lo, exec_lo
	s_branch .LBB2_228
.LBB2_233:                              ;   in Loop: Header=BB2_199 Depth=2
	s_or_b32 exec_lo, exec_lo, s19
	s_wait_alu 0xfffe
	s_and_saveexec_b32 s19, s20
	s_wait_alu 0xfffe
	s_xor_b32 s19, exec_lo, s19
	s_cbranch_execz .LBB2_235
; %bb.234:                              ;   in Loop: Header=BB2_199 Depth=2
	ds_store_b32 v0, v84
	s_trap 2
.LBB2_235:                              ;   in Loop: Header=BB2_199 Depth=2
	s_wait_alu 0xfffe
	s_or_b32 exec_lo, exec_lo, s18
	;;#ASMSTART
	s_wakeup
	;;#ASMEND
.LBB2_236:                              ;   in Loop: Header=BB2_199 Depth=2
	s_wait_alu 0xfffe
	s_or_b32 exec_lo, exec_lo, s17
.LBB2_237:                              ;   in Loop: Header=BB2_199 Depth=2
	s_wait_alu 0xfffe
	s_and_not1_saveexec_b32 s16, s16
	s_cbranch_execz .LBB2_239
; %bb.238:                              ;   in Loop: Header=BB2_199 Depth=2
	s_wait_storecnt 0x0
	s_wait_loadcnt_dscnt 0x0
	global_inv scope:SCOPE_DEV
	s_barrier_signal -1
	s_barrier_wait -1
.LBB2_239:                              ;   in Loop: Header=BB2_199 Depth=2
	s_wait_alu 0xfffe
	s_or_b32 exec_lo, exec_lo, s16
.LBB2_240:                              ;   in Loop: Header=BB2_199 Depth=2
	s_wait_alu 0xfffe
	s_or_b32 exec_lo, exec_lo, s13
	v_and_b32_e32 v3, 16, v70
	s_and_saveexec_b32 s13, s7
	s_wait_alu 0xfffe
	s_xor_b32 s16, exec_lo, s13
	s_cbranch_execz .LBB2_244
; %bb.241:                              ;   in Loop: Header=BB2_199 Depth=2
	s_trap 2
	ds_load_b32 v3, v0
	v_cmp_lt_i32_e32 vcc_lo, 0, v8
	s_wait_dscnt 0x0
	v_readfirstlane_b32 s13, v3
	v_and_b32_e32 v3, 16, v70
	s_cmp_eq_u32 s13, 0
	s_delay_alu instid0(VALU_DEP_1)
	v_cmp_ne_u32_e64 s13, 0, v3
	s_cselect_b32 s17, -1, 0
	v_and_b32_e32 v3, 16, v70
	s_wait_alu 0xfffe
	s_and_b32 s17, vcc_lo, s17
	s_wait_alu 0xfffe
	s_and_b32 s17, s13, s17
	s_wait_alu 0xfffe
	s_and_saveexec_b32 s13, s17
	s_cbranch_execz .LBB2_243
; %bb.242:                              ;   in Loop: Header=BB2_199 Depth=2
	v_mov_b32_e32 v3, 1
	global_wb scope:SCOPE_SYS
	s_wait_loadcnt 0x0
	s_wait_storecnt 0x0
	global_inv scope:SCOPE_SYS
.LBB2_243:                              ;   in Loop: Header=BB2_199 Depth=2
	s_wait_alu 0xfffe
	s_or_b32 exec_lo, exec_lo, s13
.LBB2_244:                              ;   in Loop: Header=BB2_199 Depth=2
	s_wait_alu 0xfffe
	s_and_not1_saveexec_b32 s13, s16
	s_cbranch_execz .LBB2_263
; %bb.245:                              ;   in Loop: Header=BB2_199 Depth=2
	s_and_saveexec_b32 s16, s3
	s_wait_alu 0xfffe
	s_xor_b32 s16, exec_lo, s16
	s_cbranch_execz .LBB2_260
; %bb.246:                              ;   in Loop: Header=BB2_199 Depth=2
	s_and_saveexec_b32 s17, s6
	s_cbranch_execz .LBB2_259
; %bb.247:                              ;   in Loop: Header=BB2_199 Depth=2
	s_mov_b32 s19, exec_lo
	s_mov_b32 s18, exec_lo
	s_wait_alu 0xfffe
	v_mbcnt_lo_u32_b32 v9, s19, 0
	;;#ASMSTART
	s_waitcnt lgkmcnt(0) vmcnt(0)
	;;#ASMEND
	s_delay_alu instid0(VALU_DEP_1)
	v_cmpx_eq_u32_e32 0, v9
	s_cbranch_execz .LBB2_249
; %bb.248:                              ;   in Loop: Header=BB2_199 Depth=2
	s_bcnt1_i32_b32 s19, s19
	s_wait_alu 0xfffe
	v_dual_mov_b32 v10, v2 :: v_dual_mov_b32 v9, s19
	s_wait_storecnt 0x0
	s_wait_loadcnt_dscnt 0x0
	ds_add_u64 v0, v[9:10]
	s_trap 2
.LBB2_249:                              ;   in Loop: Header=BB2_199 Depth=2
	s_or_b32 exec_lo, exec_lo, s18
	s_trap 2
	ds_load_b64 v[9:10], v0
	s_wait_dscnt 0x0
	global_inv scope:SCOPE_SE
	v_add_co_u32 v12, vcc_lo, v12, v81
	s_wait_alu 0xfffd
	v_add_co_ci_u32_e64 v13, null, 0, v13, vcc_lo
	s_mov_b32 s18, exec_lo
	v_cmpx_lt_u64_e64 v[9:10], v[12:13]
	s_cbranch_execz .LBB2_258
; %bb.250:                              ;   in Loop: Header=BB2_199 Depth=2
	s_mov_b32 s19, 0
	s_mov_b32 s22, 0
                                        ; implicit-def: $sgpr20
                                        ; implicit-def: $sgpr21
	s_branch .LBB2_252
.LBB2_251:                              ;   in Loop: Header=BB2_252 Depth=3
	s_wait_alu 0xfffe
	s_or_b32 exec_lo, exec_lo, s24
	s_delay_alu instid0(SALU_CYCLE_1)
	s_and_b32 s23, exec_lo, s25
	s_wait_alu 0xfffe
	s_or_b32 s19, s23, s19
	s_and_not1_b32 s20, s20, exec_lo
	s_and_b32 s23, s21, exec_lo
	s_wait_alu 0xfffe
	s_or_b32 s20, s20, s23
	s_and_not1_b32 exec_lo, exec_lo, s19
	s_cbranch_execz .LBB2_256
.LBB2_252:                              ;   Parent Loop BB2_47 Depth=1
                                        ;     Parent Loop BB2_199 Depth=2
                                        ; =>    This Inner Loop Header: Depth=3
	s_wait_alu 0xfffe
	s_add_co_i32 s22, s22, 1
	s_wait_alu 0xfffe
	s_cmp_lg_u32 s22, 0x2710
	s_cselect_b32 s23, -1, 0
	s_wait_alu 0xfffe
	s_and_b32 vcc_lo, exec_lo, s23
	s_wait_alu 0xfffe
	s_cbranch_vccz .LBB2_254
; %bb.253:                              ;   in Loop: Header=BB2_252 Depth=3
	s_mov_b32 s25, -1
	s_or_b32 s21, s21, exec_lo
	s_and_saveexec_b32 s24, s23
	s_cbranch_execz .LBB2_251
	s_branch .LBB2_255
.LBB2_254:                              ;   in Loop: Header=BB2_252 Depth=3
	s_trap 2
	ds_load_b64 v[9:10], v0
	s_and_not1_b32 s23, s23, exec_lo
	s_mov_b32 s22, 0
	s_wait_storecnt 0x0
	s_wait_loadcnt_dscnt 0x0
	flat_load_b32 v9, v[9:10] scope:SCOPE_SYS
	s_wait_loadcnt_dscnt 0x0
	global_inv scope:SCOPE_SYS
	v_cmp_eq_u32_e32 vcc_lo, 0, v9
	s_and_b32 s24, vcc_lo, exec_lo
	s_wait_alu 0xfffe
	s_or_b32 s23, s23, s24
	s_mov_b32 s25, -1
	s_or_b32 s21, s21, exec_lo
	s_wait_alu 0xfffe
	s_and_saveexec_b32 s24, s23
	s_cbranch_execz .LBB2_251
.LBB2_255:                              ;   in Loop: Header=BB2_252 Depth=3
	s_sleep 1
	s_trap 2
	ds_load_b64 v[9:10], v0
	s_wait_dscnt 0x0
	global_inv scope:SCOPE_SE
	s_wait_alu 0xfffe
	s_and_not1_b32 s21, s21, exec_lo
	v_cmp_ge_u64_e32 vcc_lo, v[9:10], v[12:13]
	s_or_not1_b32 s25, vcc_lo, exec_lo
	s_branch .LBB2_251
.LBB2_256:                              ;   in Loop: Header=BB2_199 Depth=2
	s_or_b32 exec_lo, exec_lo, s19
	s_wait_alu 0xfffe
	s_and_saveexec_b32 s19, s20
	s_wait_alu 0xfffe
	s_xor_b32 s19, exec_lo, s19
	s_cbranch_execz .LBB2_258
; %bb.257:                              ;   in Loop: Header=BB2_199 Depth=2
	ds_store_b32 v0, v84
	s_trap 2
.LBB2_258:                              ;   in Loop: Header=BB2_199 Depth=2
	s_wait_alu 0xfffe
	s_or_b32 exec_lo, exec_lo, s18
	;;#ASMSTART
	s_wakeup
	;;#ASMEND
.LBB2_259:                              ;   in Loop: Header=BB2_199 Depth=2
	s_wait_alu 0xfffe
	s_or_b32 exec_lo, exec_lo, s17
.LBB2_260:                              ;   in Loop: Header=BB2_199 Depth=2
	s_wait_alu 0xfffe
	s_and_not1_saveexec_b32 s16, s16
	s_cbranch_execz .LBB2_262
; %bb.261:                              ;   in Loop: Header=BB2_199 Depth=2
	;;#ASMSTART
	s_waitcnt lgkmcnt(0) vmcnt(0)
	;;#ASMEND
	s_barrier_signal -1
	s_barrier_wait -1
.LBB2_262:                              ;   in Loop: Header=BB2_199 Depth=2
	s_wait_alu 0xfffe
	s_or_b32 exec_lo, exec_lo, s16
.LBB2_263:                              ;   in Loop: Header=BB2_199 Depth=2
	s_wait_alu 0xfffe
	s_or_b32 exec_lo, exec_lo, s13
	s_delay_alu instid0(SALU_CYCLE_1)
	s_mov_b32 s13, exec_lo
	v_cmpx_ne_u32_e32 0, v3
	s_cbranch_execz .LBB2_198
; %bb.264:                              ;   in Loop: Header=BB2_199 Depth=2
	s_and_saveexec_b32 s16, s5
	s_cbranch_execz .LBB2_197
; %bb.265:                              ;   in Loop: Header=BB2_199 Depth=2
	global_wb scope:SCOPE_SYS
	s_wait_storecnt 0x0
	s_wait_loadcnt_dscnt 0x0
	flat_store_b32 v[24:25], v84 scope:SCOPE_SYS
	s_branch .LBB2_197
.LBB2_266:                              ;   in Loop: Header=BB2_47 Depth=1
	s_or_b32 exec_lo, exec_lo, s15
.LBB2_267:                              ;   in Loop: Header=BB2_47 Depth=1
	s_wait_alu 0xfffe
	s_or_b32 exec_lo, exec_lo, s14
	s_delay_alu instid0(SALU_CYCLE_1)
	s_and_not1_b32 vcc_lo, exec_lo, s63
	s_wait_alu 0xfffe
	s_cbranch_vccnz .LBB2_492
; %bb.268:                              ;   in Loop: Header=BB2_47 Depth=1
	s_mov_b32 s42, 2
	s_branch .LBB2_271
.LBB2_269:                              ;   in Loop: Header=BB2_271 Depth=2
	s_or_b32 exec_lo, exec_lo, s15
.LBB2_270:                              ;   in Loop: Header=BB2_271 Depth=2
	s_wait_alu 0xfffe
	s_or_b32 exec_lo, exec_lo, s14
	s_add_co_i32 s42, s42, 1
	s_wait_alu 0xfffe
	s_cmp_eq_u32 s42, s40
	s_cbranch_scc1 .LBB2_492
.LBB2_271:                              ;   Parent Loop BB2_47 Depth=1
                                        ; =>  This Loop Header: Depth=2
                                        ;       Child Loop BB2_274 Depth 3
                                        ;         Child Loop BB2_282 Depth 4
                                        ;         Child Loop BB2_310 Depth 4
	;; [unrolled: 1-line block ×9, first 2 shown]
                                        ;       Child Loop BB2_420 Depth 3
                                        ;         Child Loop BB2_426 Depth 4
                                        ;         Child Loop BB2_454 Depth 4
	;; [unrolled: 1-line block ×3, first 2 shown]
	s_wait_alu 0xfffe
	s_sub_co_i32 s13, s58, s42
	v_mov_b32_e32 v69, 0
	s_wait_alu 0xfffe
	s_cmp_ge_i32 s13, s40
	s_mov_b32 s79, 0
	s_cselect_b32 s14, s40, 0
	s_wait_alu 0xfffe
	s_sub_co_i32 s13, s13, s14
	s_wait_alu 0xfffe
	s_ashr_i32 s14, s13, 31
	v_mul_lo_u32 v3, v37, s13
	v_mad_co_u64_u32 v[10:11], null, v36, s13, 0
	s_wait_alu 0xfffe
	v_mul_lo_u32 v8, v36, s14
	s_delay_alu instid0(VALU_DEP_1) | instskip(NEXT) | instid1(VALU_DEP_3)
	v_add3_u32 v11, v11, v8, v3
	v_sub_co_u32 v8, vcc_lo, v48, v10
	s_wait_alu 0xfffd
	s_delay_alu instid0(VALU_DEP_2) | instskip(NEXT) | instid1(VALU_DEP_1)
	v_sub_co_ci_u32_e64 v9, null, v49, v11, vcc_lo
	v_cmp_lt_i64_e32 vcc_lo, v[36:37], v[8:9]
	s_wait_alu 0xfffd
	v_cndmask_b32_e32 v8, v8, v36, vcc_lo
	s_delay_alu instid0(VALU_DEP_1) | instskip(NEXT) | instid1(VALU_DEP_1)
	v_max_i32_e32 v68, 0, v8
	v_add_nc_u32_e32 v3, 31, v68
	s_delay_alu instid0(VALU_DEP_1) | instskip(NEXT) | instid1(VALU_DEP_1)
	v_lshrrev_b32_e32 v3, 1, v3
	v_and_b32_e32 v9, 0x3ffffff0, v3
	v_cmp_lt_i32_e32 vcc_lo, 0, v8
	v_mov_b32_e32 v3, 0
	s_delay_alu instid0(VALU_DEP_3)
	v_max_i32_e32 v8, s62, v9
	s_and_b32 s13, s74, vcc_lo
	s_wait_alu 0xfffe
	s_and_saveexec_b32 s47, s13
	s_cbranch_execz .LBB2_417
; %bb.272:                              ;   in Loop: Header=BB2_271 Depth=2
	v_mov_b32_e32 v69, 0
	s_mov_b32 s89, 1
	s_mov_b32 s88, -1
	s_branch .LBB2_274
.LBB2_273:                              ;   in Loop: Header=BB2_274 Depth=3
	s_wait_alu 0xfffe
	s_or_b32 exec_lo, exec_lo, s13
	v_add_nc_u32_e32 v69, v8, v69
	s_xor_b32 s13, s88, -1
	v_mov_b32_e32 v3, s89
	s_mov_b32 s88, 0
	s_mov_b32 s89, 2
	v_cmp_ge_i32_e32 vcc_lo, v69, v68
	s_wait_alu 0xfffe
	s_or_b32 s13, s13, vcc_lo
	s_wait_alu 0xfffe
	s_and_b32 s13, exec_lo, s13
	s_wait_alu 0xfffe
	s_or_b32 s79, s13, s79
	s_wait_alu 0xfffe
	s_and_not1_b32 exec_lo, exec_lo, s79
	s_cbranch_execz .LBB2_416
.LBB2_274:                              ;   Parent Loop BB2_47 Depth=1
                                        ;     Parent Loop BB2_271 Depth=2
                                        ; =>    This Loop Header: Depth=3
                                        ;         Child Loop BB2_282 Depth 4
                                        ;         Child Loop BB2_310 Depth 4
	;; [unrolled: 1-line block ×9, first 2 shown]
	s_and_saveexec_b32 s13, s0
	s_cbranch_execz .LBB2_276
; %bb.275:                              ;   in Loop: Header=BB2_274 Depth=3
	s_trap 2
	ds_load_b64 v[50:51], v0
	s_wait_dscnt 0x0
	v_add_co_u32 v3, vcc_lo, v50, v118
	s_wait_alu 0xfffd
	v_add_co_ci_u32_e64 v9, null, v51, v119, vcc_lo
	v_ashrrev_i32_e32 v51, 31, v69
	s_delay_alu instid0(VALU_DEP_3) | instskip(SKIP_1) | instid1(VALU_DEP_3)
	v_add_co_u32 v3, vcc_lo, v3, v10
	s_wait_alu 0xfffd
	v_add_co_ci_u32_e64 v9, null, v9, v11, vcc_lo
	s_delay_alu instid0(VALU_DEP_2) | instskip(SKIP_1) | instid1(VALU_DEP_2)
	v_add_co_u32 v50, vcc_lo, v3, v69
	s_wait_alu 0xfffd
	v_add_co_ci_u32_e64 v51, null, v9, v51, vcc_lo
	v_mov_b32_e32 v3, v2
	ds_store_b64 v0, v[50:51]
	ds_store_b64 v0, v[2:3]
.LBB2_276:                              ;   in Loop: Header=BB2_274 Depth=3
	s_wait_alu 0xfffe
	s_or_b32 exec_lo, exec_lo, s13
	v_sub_nc_u32_e32 v3, v68, v69
	v_and_b32_e32 v9, 12, v70
	s_mov_b32 s14, exec_lo
	s_delay_alu instid0(VALU_DEP_2) | instskip(NEXT) | instid1(VALU_DEP_2)
	v_min_i32_e32 v8, v8, v3
	v_cmpx_ne_u32_e32 0, v9
	s_cbranch_execz .LBB2_302
; %bb.277:                              ;   in Loop: Header=BB2_274 Depth=3
	v_and_b32_e32 v3, 8, v70
	s_mov_b32 s15, exec_lo
	s_delay_alu instid0(VALU_DEP_1)
	v_add_co_u32 v52, vcc_lo, v26, v3
	s_wait_alu 0xfffd
	v_add_co_ci_u32_e64 v53, null, 0, v27, vcc_lo
	v_add_co_u32 v50, vcc_lo, v38, 2
	s_wait_alu 0xfffd
	v_add_co_ci_u32_e64 v51, null, 0, v39, vcc_lo
	s_delay_alu instid0(VALU_DEP_1)
	v_cmpx_lt_u64_e64 v[52:53], v[50:51]
	s_cbranch_execz .LBB2_289
; %bb.278:                              ;   in Loop: Header=BB2_274 Depth=3
	v_and_b32_e32 v9, 64, v70
	s_mov_b32 s16, 0
	s_mov_b32 s20, 0
                                        ; implicit-def: $sgpr17
                                        ; implicit-def: $sgpr18
                                        ; implicit-def: $sgpr19
	s_delay_alu instid0(VALU_DEP_1)
	v_cmp_eq_u32_e32 vcc_lo, 0, v9
	s_branch .LBB2_282
.LBB2_279:                              ;   in Loop: Header=BB2_282 Depth=4
	v_add_co_u32 v52, s13, v26, v3
	s_wait_alu 0xf1ff
	v_add_co_ci_u32_e64 v53, null, 0, v27, s13
	s_or_b32 s23, s23, exec_lo
	v_cmp_ge_u64_e64 s13, v[52:53], v[50:51]
	s_or_not1_b32 s22, s13, exec_lo
.LBB2_280:                              ;   in Loop: Header=BB2_282 Depth=4
	s_wait_alu 0xfffe
	s_or_b32 exec_lo, exec_lo, s25
	s_delay_alu instid0(SALU_CYCLE_1)
	s_and_not1_b32 s13, s19, exec_lo
	s_and_b32 s19, s23, exec_lo
	s_and_not1_b32 s18, s18, exec_lo
	s_and_b32 s22, s22, exec_lo
	s_wait_alu 0xfffe
	s_or_b32 s19, s13, s19
	s_or_b32 s18, s18, s22
.LBB2_281:                              ;   in Loop: Header=BB2_282 Depth=4
	s_wait_alu 0xfffe
	s_or_b32 exec_lo, exec_lo, s21
	s_delay_alu instid0(SALU_CYCLE_1)
	s_and_b32 s13, exec_lo, s18
	s_wait_alu 0xfffe
	s_or_b32 s16, s13, s16
	s_and_not1_b32 s13, s17, exec_lo
	s_and_b32 s17, s19, exec_lo
	s_wait_alu 0xfffe
	s_or_b32 s17, s13, s17
	s_and_not1_b32 exec_lo, exec_lo, s16
	s_cbranch_execz .LBB2_286
.LBB2_282:                              ;   Parent Loop BB2_47 Depth=1
                                        ;     Parent Loop BB2_271 Depth=2
                                        ;       Parent Loop BB2_274 Depth=3
                                        ; =>      This Inner Loop Header: Depth=4
	s_sleep 1
	flat_load_b64 v[26:27], v[20:21] scope:SCOPE_SYS
	s_wait_loadcnt_dscnt 0x0
	global_inv scope:SCOPE_SYS
	s_or_b32 s19, s19, exec_lo
	s_or_b32 s18, s18, exec_lo
                                        ; implicit-def: $vgpr9
	s_and_saveexec_b32 s21, vcc_lo
	s_cbranch_execz .LBB2_281
; %bb.283:                              ;   in Loop: Header=BB2_282 Depth=4
	s_wait_alu 0xfffe
	s_cmp_lt_i32 s20, 0x270f
	s_mov_b32 s22, -1
	s_cselect_b32 s24, -1, 0
	s_cmp_gt_i32 s20, 0x270e
	s_cbranch_scc0 .LBB2_285
; %bb.284:                              ;   in Loop: Header=BB2_282 Depth=4
	s_trap 2
	ds_load_b64 v[52:53], v0
	s_wait_alu 0xfffe
	s_and_not1_b32 s20, s24, exec_lo
	s_mov_b32 s23, 0
	s_wait_storecnt 0x0
	s_wait_loadcnt_dscnt 0x0
	flat_load_b32 v9, v[52:53] scope:SCOPE_SYS
	s_wait_loadcnt_dscnt 0x0
	global_inv scope:SCOPE_SYS
	v_cmp_eq_u32_e64 s13, 0, v9
	s_and_b32 s13, s13, exec_lo
	s_wait_alu 0xfffe
	s_or_b32 s24, s20, s13
	s_mov_b32 s20, 0
	s_wait_alu 0xfffe
	s_and_saveexec_b32 s25, s24
	s_cbranch_execz .LBB2_280
	s_branch .LBB2_279
.LBB2_285:                              ;   in Loop: Header=BB2_282 Depth=4
	s_add_co_i32 s20, s20, 1
	s_mov_b32 s23, -1
                                        ; implicit-def: $vgpr9
	s_wait_alu 0xfffe
	s_and_saveexec_b32 s25, s24
	s_cbranch_execz .LBB2_280
	s_branch .LBB2_279
.LBB2_286:                              ;   in Loop: Header=BB2_274 Depth=3
	s_or_b32 exec_lo, exec_lo, s16
	s_wait_alu 0xfffe
	s_xor_b32 s13, s17, -1
	s_wait_alu 0xfffe
	s_and_saveexec_b32 s16, s13
	s_wait_alu 0xfffe
	s_xor_b32 s13, exec_lo, s16
	s_cbranch_execz .LBB2_288
; %bb.287:                              ;   in Loop: Header=BB2_274 Depth=3
	v_or_b32_e32 v70, 64, v70
	s_wait_loadcnt 0x0
	s_wait_storecnt 0x0
	ds_store_b32 v0, v9
	s_trap 2
.LBB2_288:                              ;   in Loop: Header=BB2_274 Depth=3
	s_wait_alu 0xfffe
	s_or_b32 exec_lo, exec_lo, s13
.LBB2_289:                              ;   in Loop: Header=BB2_274 Depth=3
	s_wait_alu 0xfffe
	s_or_b32 exec_lo, exec_lo, s15
	v_and_b32_e32 v9, 0x108, v70
	s_mov_b32 s13, exec_lo
	;;#ASMSTART
	s_wakeup
	;;#ASMEND
                                        ; implicit-def: $vgpr52_vgpr53
	s_delay_alu instid0(VALU_DEP_1)
	v_cmpx_ne_u32_e32 0x108, v9
	s_wait_alu 0xfffe
	s_xor_b32 s13, exec_lo, s13
; %bb.290:                              ;   in Loop: Header=BB2_274 Depth=3
	v_dual_mov_b32 v53, v2 :: v_dual_and_b32 v52, 7, v38
                                        ; implicit-def: $vgpr38_vgpr39
; %bb.291:                              ;   in Loop: Header=BB2_274 Depth=3
	s_wait_alu 0xfffe
	s_and_not1_saveexec_b32 s13, s13
	s_cbranch_execz .LBB2_293
; %bb.292:                              ;   in Loop: Header=BB2_274 Depth=3
	v_dual_mov_b32 v53, v2 :: v_dual_and_b32 v52, 7, v38
	v_ashrrev_i32_e32 v9, 31, v8
	s_delay_alu instid0(VALU_DEP_2)
	v_mad_co_u64_u32 v[38:39], null, v52, 24, v[6:7]
	flat_store_b64 v[38:39], v[8:9] offset:8
.LBB2_293:                              ;   in Loop: Header=BB2_274 Depth=3
	s_wait_alu 0xfffe
	s_or_b32 exec_lo, exec_lo, s13
	v_and_b32_e32 v9, 0x100, v70
	s_mov_b32 s13, -1
	s_mov_b32 s15, exec_lo
                                        ; implicit-def: $vgpr38_vgpr39
	s_delay_alu instid0(VALU_DEP_1)
	v_cmpx_ne_u32_e32 0, v9
	s_cbranch_execz .LBB2_297
; %bb.294:                              ;   in Loop: Header=BB2_274 Depth=3
	v_mad_co_u64_u32 v[54:55], null, v52, 24, v[6:7]
	s_mov_b32 s16, exec_lo
	v_mov_b32_e32 v9, v55
	s_delay_alu instid0(VALU_DEP_1) | instskip(NEXT) | instid1(VALU_DEP_1)
	v_mad_co_u64_u32 v[38:39], null, v53, 24, v[9:10]
	v_mov_b32_e32 v55, v38
                                        ; implicit-def: $vgpr38_vgpr39
	flat_load_b32 v9, v[54:55]
	s_wait_loadcnt_dscnt 0x0
	v_cmp_ne_u32_e32 vcc_lo, 1, v9
	v_cmpx_eq_u32_e32 1, v9
	s_cbranch_execz .LBB2_296
; %bb.295:                              ;   in Loop: Header=BB2_274 Depth=3
	flat_load_b32 v38, v[54:55] offset:4 scope:SCOPE_SYS
	s_wait_loadcnt_dscnt 0x0
	v_ashrrev_i32_e32 v39, 31, v38
.LBB2_296:                              ;   in Loop: Header=BB2_274 Depth=3
	s_wait_alu 0xfffe
	s_or_b32 exec_lo, exec_lo, s16
	s_delay_alu instid0(SALU_CYCLE_1)
	s_or_not1_b32 s13, vcc_lo, exec_lo
.LBB2_297:                              ;   in Loop: Header=BB2_274 Depth=3
	s_wait_alu 0xfffe
	s_or_b32 exec_lo, exec_lo, s15
	s_and_saveexec_b32 s15, s13
; %bb.298:                              ;   in Loop: Header=BB2_274 Depth=3
	v_mul_lo_u32 v9, v53, v71
	v_mul_lo_u32 v53, v52, v80
	v_mad_co_u64_u32 v[38:39], null, v52, v71, 0
	s_delay_alu instid0(VALU_DEP_1)
	v_add3_u32 v39, v39, v53, v9
; %bb.299:                              ;   in Loop: Header=BB2_274 Depth=3
	s_wait_alu 0xfffe
	s_or_b32 exec_lo, exec_lo, s15
	v_cmp_eq_u32_e32 vcc_lo, 0, v3
	v_and_b32_e32 v9, 0x2000, v70
	s_mov_b32 s13, exec_lo
	s_wait_alu 0xfffd
	v_cndmask_b32_e32 v3, 0xc8, v85, vcc_lo
	v_add_co_u32 v38, vcc_lo, v22, v38
	s_wait_alu 0xfffd
	v_add_co_ci_u32_e64 v39, null, v23, v39, vcc_lo
	s_delay_alu instid0(VALU_DEP_3)
	v_add_nc_u32_e32 v3, v0, v3
	ds_store_b64 v3, v[38:39] offset:584
	v_cmpx_ne_u32_e32 0, v9
	s_cbranch_execz .LBB2_301
; %bb.300:                              ;   in Loop: Header=BB2_274 Depth=3
	ds_load_b64 v[38:39], v0 offset:872
	s_wait_dscnt 0x0
	v_add_co_u32 v38, vcc_lo, v38, 1
	s_wait_alu 0xfffd
	v_add_co_ci_u32_e64 v39, null, 0, v39, vcc_lo
	ds_store_b64 v0, v[38:39] offset:872
.LBB2_301:                              ;   in Loop: Header=BB2_274 Depth=3
	s_wait_alu 0xfffe
	s_or_b32 exec_lo, exec_lo, s13
	v_dual_mov_b32 v38, v50 :: v_dual_mov_b32 v39, v51
.LBB2_302:                              ;   in Loop: Header=BB2_274 Depth=3
	s_wait_alu 0xfffe
	s_or_b32 exec_lo, exec_lo, s14
	s_and_saveexec_b32 s13, s2
	s_cbranch_execz .LBB2_321
; %bb.303:                              ;   in Loop: Header=BB2_274 Depth=3
	s_and_saveexec_b32 s14, s3
	s_wait_alu 0xfffe
	s_xor_b32 s14, exec_lo, s14
	s_cbranch_execz .LBB2_318
; %bb.304:                              ;   in Loop: Header=BB2_274 Depth=3
	s_and_saveexec_b32 s15, s6
	s_cbranch_execz .LBB2_317
; %bb.305:                              ;   in Loop: Header=BB2_274 Depth=3
	s_mov_b32 s17, exec_lo
	s_mov_b32 s16, exec_lo
	s_wait_alu 0xfffe
	v_mbcnt_lo_u32_b32 v3, s17, 0
	s_wait_storecnt 0x0
	s_wait_loadcnt_dscnt 0x0
	global_inv scope:SCOPE_DEV
	v_cmpx_eq_u32_e32 0, v3
	s_cbranch_execz .LBB2_307
; %bb.306:                              ;   in Loop: Header=BB2_274 Depth=3
	s_bcnt1_i32_b32 s17, s17
	s_wait_alu 0xfffe
	v_dual_mov_b32 v51, v2 :: v_dual_mov_b32 v50, s17
	s_wait_loadcnt 0x0
	ds_add_u64 v0, v[50:51]
	s_trap 2
.LBB2_307:                              ;   in Loop: Header=BB2_274 Depth=3
	s_or_b32 exec_lo, exec_lo, s16
	s_trap 2
	ds_load_b64 v[50:51], v0
	s_wait_dscnt 0x0
	global_inv scope:SCOPE_SE
	v_add_co_u32 v12, vcc_lo, v12, v81
	s_wait_alu 0xfffd
	v_add_co_ci_u32_e64 v13, null, 0, v13, vcc_lo
	s_mov_b32 s16, exec_lo
	v_cmpx_lt_u64_e64 v[50:51], v[12:13]
	s_cbranch_execz .LBB2_316
; %bb.308:                              ;   in Loop: Header=BB2_274 Depth=3
	s_mov_b32 s17, 0
	s_mov_b32 s20, 0
                                        ; implicit-def: $sgpr18
                                        ; implicit-def: $sgpr19
	s_branch .LBB2_310
.LBB2_309:                              ;   in Loop: Header=BB2_310 Depth=4
	s_wait_alu 0xfffe
	s_or_b32 exec_lo, exec_lo, s22
	s_delay_alu instid0(SALU_CYCLE_1)
	s_and_b32 s21, exec_lo, s23
	s_wait_alu 0xfffe
	s_or_b32 s17, s21, s17
	s_and_not1_b32 s18, s18, exec_lo
	s_and_b32 s21, s19, exec_lo
	s_wait_alu 0xfffe
	s_or_b32 s18, s18, s21
	s_and_not1_b32 exec_lo, exec_lo, s17
	s_cbranch_execz .LBB2_314
.LBB2_310:                              ;   Parent Loop BB2_47 Depth=1
                                        ;     Parent Loop BB2_271 Depth=2
                                        ;       Parent Loop BB2_274 Depth=3
                                        ; =>      This Inner Loop Header: Depth=4
	s_wait_alu 0xfffe
	s_add_co_i32 s20, s20, 1
	s_wait_alu 0xfffe
	s_cmp_lg_u32 s20, 0x2710
	s_cselect_b32 s21, -1, 0
	s_wait_alu 0xfffe
	s_and_b32 vcc_lo, exec_lo, s21
	s_wait_alu 0xfffe
	s_cbranch_vccz .LBB2_312
; %bb.311:                              ;   in Loop: Header=BB2_310 Depth=4
	s_mov_b32 s23, -1
	s_or_b32 s19, s19, exec_lo
	s_and_saveexec_b32 s22, s21
	s_cbranch_execz .LBB2_309
	s_branch .LBB2_313
.LBB2_312:                              ;   in Loop: Header=BB2_310 Depth=4
	s_trap 2
	ds_load_b64 v[50:51], v0
	s_and_not1_b32 s21, s21, exec_lo
	s_mov_b32 s20, 0
	s_wait_loadcnt_dscnt 0x0
	flat_load_b32 v3, v[50:51] scope:SCOPE_SYS
	s_wait_loadcnt_dscnt 0x0
	global_inv scope:SCOPE_SYS
	v_cmp_eq_u32_e32 vcc_lo, 0, v3
	s_and_b32 s22, vcc_lo, exec_lo
	s_wait_alu 0xfffe
	s_or_b32 s21, s21, s22
	s_mov_b32 s23, -1
	s_or_b32 s19, s19, exec_lo
	s_wait_alu 0xfffe
	s_and_saveexec_b32 s22, s21
	s_cbranch_execz .LBB2_309
.LBB2_313:                              ;   in Loop: Header=BB2_310 Depth=4
	s_sleep 1
	s_trap 2
	ds_load_b64 v[50:51], v0
	s_wait_dscnt 0x0
	global_inv scope:SCOPE_SE
	s_wait_alu 0xfffe
	s_and_not1_b32 s19, s19, exec_lo
	v_cmp_ge_u64_e32 vcc_lo, v[50:51], v[12:13]
	s_or_not1_b32 s23, vcc_lo, exec_lo
	s_branch .LBB2_309
.LBB2_314:                              ;   in Loop: Header=BB2_274 Depth=3
	s_or_b32 exec_lo, exec_lo, s17
	s_wait_alu 0xfffe
	s_and_saveexec_b32 s17, s18
	s_wait_alu 0xfffe
	s_xor_b32 s17, exec_lo, s17
	s_cbranch_execz .LBB2_316
; %bb.315:                              ;   in Loop: Header=BB2_274 Depth=3
	ds_store_b32 v0, v84
	s_trap 2
.LBB2_316:                              ;   in Loop: Header=BB2_274 Depth=3
	s_wait_alu 0xfffe
	s_or_b32 exec_lo, exec_lo, s16
	;;#ASMSTART
	s_wakeup
	;;#ASMEND
.LBB2_317:                              ;   in Loop: Header=BB2_274 Depth=3
	s_wait_alu 0xfffe
	s_or_b32 exec_lo, exec_lo, s15
.LBB2_318:                              ;   in Loop: Header=BB2_274 Depth=3
	s_wait_alu 0xfffe
	s_and_not1_saveexec_b32 s14, s14
	s_cbranch_execz .LBB2_320
; %bb.319:                              ;   in Loop: Header=BB2_274 Depth=3
	s_wait_storecnt 0x0
	s_wait_loadcnt_dscnt 0x0
	global_inv scope:SCOPE_DEV
	s_barrier_signal -1
	s_barrier_wait -1
.LBB2_320:                              ;   in Loop: Header=BB2_274 Depth=3
	s_wait_alu 0xfffe
	s_or_b32 exec_lo, exec_lo, s14
.LBB2_321:                              ;   in Loop: Header=BB2_274 Depth=3
	s_wait_alu 0xfffe
	s_or_b32 exec_lo, exec_lo, s13
	s_trap 2
	ds_load_b32 v3, v0
	v_and_b32_e32 v9, 0x4000, v70
	s_xor_b32 s13, s1, -1
	s_delay_alu instid0(VALU_DEP_1)
	v_cmp_ne_u32_e32 vcc_lo, 0, v9
	s_wait_alu 0xfffe
	s_and_b32 s14, s13, vcc_lo
	s_wait_alu 0xfffe
	s_and_saveexec_b32 s13, s14
	s_cbranch_execz .LBB2_340
; %bb.322:                              ;   in Loop: Header=BB2_274 Depth=3
	s_and_saveexec_b32 s14, s3
	s_wait_alu 0xfffe
	s_xor_b32 s14, exec_lo, s14
	s_cbranch_execz .LBB2_337
; %bb.323:                              ;   in Loop: Header=BB2_274 Depth=3
	s_and_saveexec_b32 s15, s6
	s_cbranch_execz .LBB2_336
; %bb.324:                              ;   in Loop: Header=BB2_274 Depth=3
	s_mov_b32 s17, exec_lo
	s_mov_b32 s16, exec_lo
	s_wait_alu 0xfffe
	v_mbcnt_lo_u32_b32 v9, s17, 0
	s_wait_storecnt 0x0
	s_wait_loadcnt_dscnt 0x0
	global_inv scope:SCOPE_DEV
	v_cmpx_eq_u32_e32 0, v9
	s_cbranch_execz .LBB2_326
; %bb.325:                              ;   in Loop: Header=BB2_274 Depth=3
	s_bcnt1_i32_b32 s17, s17
	s_wait_alu 0xfffe
	v_dual_mov_b32 v51, v2 :: v_dual_mov_b32 v50, s17
	s_wait_loadcnt 0x0
	ds_add_u64 v0, v[50:51]
	s_trap 2
.LBB2_326:                              ;   in Loop: Header=BB2_274 Depth=3
	s_or_b32 exec_lo, exec_lo, s16
	s_trap 2
	ds_load_b64 v[50:51], v0
	s_wait_dscnt 0x0
	global_inv scope:SCOPE_SE
	v_add_co_u32 v12, vcc_lo, v12, v81
	s_wait_alu 0xfffd
	v_add_co_ci_u32_e64 v13, null, 0, v13, vcc_lo
	s_mov_b32 s16, exec_lo
	v_cmpx_lt_u64_e64 v[50:51], v[12:13]
	s_cbranch_execz .LBB2_335
; %bb.327:                              ;   in Loop: Header=BB2_274 Depth=3
	s_mov_b32 s17, 0
	s_mov_b32 s20, 0
                                        ; implicit-def: $sgpr18
                                        ; implicit-def: $sgpr19
	s_branch .LBB2_329
.LBB2_328:                              ;   in Loop: Header=BB2_329 Depth=4
	s_wait_alu 0xfffe
	s_or_b32 exec_lo, exec_lo, s22
	s_delay_alu instid0(SALU_CYCLE_1)
	s_and_b32 s21, exec_lo, s23
	s_wait_alu 0xfffe
	s_or_b32 s17, s21, s17
	s_and_not1_b32 s18, s18, exec_lo
	s_and_b32 s21, s19, exec_lo
	s_wait_alu 0xfffe
	s_or_b32 s18, s18, s21
	s_and_not1_b32 exec_lo, exec_lo, s17
	s_cbranch_execz .LBB2_333
.LBB2_329:                              ;   Parent Loop BB2_47 Depth=1
                                        ;     Parent Loop BB2_271 Depth=2
                                        ;       Parent Loop BB2_274 Depth=3
                                        ; =>      This Inner Loop Header: Depth=4
	s_wait_alu 0xfffe
	s_add_co_i32 s20, s20, 1
	s_wait_alu 0xfffe
	s_cmp_lg_u32 s20, 0x2710
	s_cselect_b32 s21, -1, 0
	s_wait_alu 0xfffe
	s_and_b32 vcc_lo, exec_lo, s21
	s_wait_alu 0xfffe
	s_cbranch_vccz .LBB2_331
; %bb.330:                              ;   in Loop: Header=BB2_329 Depth=4
	s_mov_b32 s23, -1
	s_or_b32 s19, s19, exec_lo
	s_and_saveexec_b32 s22, s21
	s_cbranch_execz .LBB2_328
	s_branch .LBB2_332
.LBB2_331:                              ;   in Loop: Header=BB2_329 Depth=4
	s_trap 2
	ds_load_b64 v[50:51], v0
	s_and_not1_b32 s21, s21, exec_lo
	s_mov_b32 s20, 0
	s_wait_loadcnt_dscnt 0x0
	flat_load_b32 v9, v[50:51] scope:SCOPE_SYS
	s_wait_loadcnt_dscnt 0x0
	global_inv scope:SCOPE_SYS
	v_cmp_eq_u32_e32 vcc_lo, 0, v9
	s_and_b32 s22, vcc_lo, exec_lo
	s_wait_alu 0xfffe
	s_or_b32 s21, s21, s22
	s_mov_b32 s23, -1
	s_or_b32 s19, s19, exec_lo
	s_wait_alu 0xfffe
	s_and_saveexec_b32 s22, s21
	s_cbranch_execz .LBB2_328
.LBB2_332:                              ;   in Loop: Header=BB2_329 Depth=4
	s_sleep 1
	s_trap 2
	ds_load_b64 v[50:51], v0
	s_wait_dscnt 0x0
	global_inv scope:SCOPE_SE
	s_wait_alu 0xfffe
	s_and_not1_b32 s19, s19, exec_lo
	v_cmp_ge_u64_e32 vcc_lo, v[50:51], v[12:13]
	s_or_not1_b32 s23, vcc_lo, exec_lo
	s_branch .LBB2_328
.LBB2_333:                              ;   in Loop: Header=BB2_274 Depth=3
	s_or_b32 exec_lo, exec_lo, s17
	s_wait_alu 0xfffe
	s_and_saveexec_b32 s17, s18
	s_wait_alu 0xfffe
	s_xor_b32 s17, exec_lo, s17
	s_cbranch_execz .LBB2_335
; %bb.334:                              ;   in Loop: Header=BB2_274 Depth=3
	ds_store_b32 v0, v84
	s_trap 2
.LBB2_335:                              ;   in Loop: Header=BB2_274 Depth=3
	s_wait_alu 0xfffe
	s_or_b32 exec_lo, exec_lo, s16
	;;#ASMSTART
	s_wakeup
	;;#ASMEND
.LBB2_336:                              ;   in Loop: Header=BB2_274 Depth=3
	s_wait_alu 0xfffe
	s_or_b32 exec_lo, exec_lo, s15
.LBB2_337:                              ;   in Loop: Header=BB2_274 Depth=3
	s_wait_alu 0xfffe
	s_and_not1_saveexec_b32 s14, s14
	s_cbranch_execz .LBB2_339
; %bb.338:                              ;   in Loop: Header=BB2_274 Depth=3
	s_wait_storecnt 0x0
	s_wait_loadcnt_dscnt 0x0
	global_inv scope:SCOPE_DEV
	s_barrier_signal -1
	s_barrier_wait -1
.LBB2_339:                              ;   in Loop: Header=BB2_274 Depth=3
	s_wait_alu 0xfffe
	s_or_b32 exec_lo, exec_lo, s14
.LBB2_340:                              ;   in Loop: Header=BB2_274 Depth=3
	s_wait_alu 0xfffe
	s_or_b32 exec_lo, exec_lo, s13
	s_trap 2
	ds_load_b64 v[50:51], v0
	s_wait_dscnt 0x0
	v_cmp_eq_u64_e32 vcc_lo, 0, v[50:51]
	s_cbranch_vccnz .LBB2_348
; %bb.341:                              ;   in Loop: Header=BB2_274 Depth=3
	s_trap 2
	ds_load_b64 v[52:53], v0
	s_wait_dscnt 0x0
	v_cmp_eq_u64_e32 vcc_lo, 0, v[52:53]
	s_cbranch_vccnz .LBB2_348
; %bb.342:                              ;   in Loop: Header=BB2_274 Depth=3
	s_mov_b32 s13, -1
	s_and_saveexec_b32 s14, s12
	s_cbranch_execz .LBB2_344
; %bb.343:                              ;   in Loop: Header=BB2_274 Depth=3
	ds_load_b32 v9, v0 offset:720
	s_wait_dscnt 0x0
	v_and_b32_e32 v9, 15, v9
	s_delay_alu instid0(VALU_DEP_1)
	v_cmp_eq_u32_e32 vcc_lo, 0, v9
	s_or_not1_b32 s13, vcc_lo, exec_lo
.LBB2_344:                              ;   in Loop: Header=BB2_274 Depth=3
	s_wait_alu 0xfffe
	s_or_b32 exec_lo, exec_lo, s14
	s_and_saveexec_b32 s14, s11
	s_cbranch_execz .LBB2_346
; %bb.345:                              ;   in Loop: Header=BB2_274 Depth=3
	ds_load_b32 v9, v0 offset:784
	s_wait_dscnt 0x0
	v_and_b32_e32 v9, 15, v9
	s_delay_alu instid0(VALU_DEP_1)
	v_cmp_eq_u32_e32 vcc_lo, 0, v9
	s_and_b32 s15, s13, vcc_lo
	s_and_not1_b32 s13, s13, exec_lo
	s_wait_alu 0xfffe
	s_and_b32 s15, s15, exec_lo
	s_wait_alu 0xfffe
	s_or_b32 s13, s13, s15
.LBB2_346:                              ;   in Loop: Header=BB2_274 Depth=3
	s_wait_alu 0xfffe
	s_or_b32 exec_lo, exec_lo, s14
	v_cmp_eq_u32_e32 vcc_lo, 0, v3
	s_xor_b32 s13, s13, -1
	v_mov_b32_e32 v54, v102
	s_wait_alu 0xfffe
	v_cndmask_b32_e64 v9, 0, 1, s13
	s_mov_b32 s14, -1
	s_wait_alu 0xfffd
	v_dual_cndmask_b32 v3, 0, v8 :: v_dual_mov_b32 v64, 0
	v_mov_b32_e32 v66, v0
	v_cmp_ne_u32_e32 vcc_lo, 0, v9
	s_delay_alu instid0(VALU_DEP_3)
	v_mov_b32_e32 v65, v3
	s_cbranch_vccz .LBB2_349
; %bb.347:                              ;   in Loop: Header=BB2_274 Depth=3
	s_wait_alu 0xfffe
	s_and_saveexec_b32 s21, s14
	s_cbranch_execnz .LBB2_362
	s_branch .LBB2_370
.LBB2_348:                              ;   in Loop: Header=BB2_274 Depth=3
	s_mov_b32 s13, 0
	s_and_saveexec_b32 s14, s2
	s_cbranch_execnz .LBB2_371
	s_branch .LBB2_389
.LBB2_349:                              ;   in Loop: Header=BB2_274 Depth=3
	v_ashrrev_i32_e32 v9, 31, v3
	v_sub_nc_u32_e32 v128, v3, v83
	s_mov_b32 s90, exec_lo
	s_delay_alu instid0(VALU_DEP_2) | instskip(NEXT) | instid1(VALU_DEP_1)
	v_lshrrev_b32_e32 v9, 23, v9
	v_add_nc_u32_e32 v54, v3, v9
	s_delay_alu instid0(VALU_DEP_1) | instskip(SKIP_1) | instid1(VALU_DEP_2)
	v_and_b32_e32 v9, 0xfffffe00, v54
	v_ashrrev_i32_e32 v54, 9, v54
	v_sub_nc_u32_e32 v129, v3, v9
	s_delay_alu instid0(VALU_DEP_1) | instskip(SKIP_1) | instid1(VALU_DEP_3)
	v_cmp_lt_i32_e32 vcc_lo, 15, v129
	s_wait_alu 0xfffd
	v_add_co_ci_u32_e64 v130, null, v54, v115, vcc_lo
	v_cmpx_lt_i32_e32 15, v128
	s_cbranch_execz .LBB2_353
; %bb.350:                              ;   in Loop: Header=BB2_274 Depth=3
	s_trap 2
	ds_load_b64 v[64:65], v0
	v_add_co_u32 v54, s13, v50, v83
	s_wait_alu 0xf1ff
	v_add_co_ci_u32_e64 v55, null, v51, v98, s13
	s_mov_b32 s91, 0
	s_wait_dscnt 0x0
	v_add_co_u32 v64, s13, v64, v83
	s_wait_alu 0xf1ff
	v_add_co_ci_u32_e64 v65, null, v65, v98, s13
	v_add_co_u32 v66, s13, v52, v83
	s_wait_alu 0xf1ff
	v_add_co_ci_u32_e64 v67, null, v53, v98, s13
.LBB2_351:                              ;   Parent Loop BB2_47 Depth=1
                                        ;     Parent Loop BB2_271 Depth=2
                                        ;       Parent Loop BB2_274 Depth=3
                                        ; =>      This Inner Loop Header: Depth=4
	global_load_b128 v[131:134], v[64:65], off th:TH_LOAD_NT
	global_load_b128 v[144:147], v[54:55], off th:TH_LOAD_NT
	v_dual_mov_b32 v135, 0 :: v_dual_mov_b32 v148, 0
	v_dual_mov_b32 v149, 0 :: v_dual_mov_b32 v150, 0
	;; [unrolled: 1-line block ×8, first 2 shown]
	v_sub_nc_u32_e32 v128, v128, v96
	v_add_co_u32 v54, s13, v54, v96
	s_wait_alu 0xf1ff
	v_add_co_ci_u32_e64 v55, null, 0, v55, s13
	v_add_co_u32 v64, s13, v64, v96
	s_wait_alu 0xf1ff
	v_add_co_ci_u32_e64 v65, null, 0, v65, s13
	v_cmp_gt_i32_e64 s13, 16, v128
	v_sub_nc_u32_e32 v130, v130, v81
	s_wait_alu 0xfffe
	s_or_b32 s91, s13, s91
	s_wait_loadcnt 0x1
	v_bfe_u32 v180, v131, 8, 8
	v_lshrrev_b32_e32 v181, 24, v131
	s_wait_loadcnt 0x0
	v_bfe_u32 v56, v144, 8, 8
	v_lshrrev_b32_e32 v57, 24, v144
	v_lshrrev_b32_e32 v40, 24, v132
	v_cvt_f32_bf8_e32 v180, v180
	v_cvt_f32_bf8_e32 v181, v181
	;; [unrolled: 1-line block ×3, first 2 shown]
	v_and_b32_e32 v179, 0xff, v131
	v_bfe_u32 v131, v131, 16, 8
	v_cvt_f32_bf8_e32 v57, v57
	v_and_b32_e32 v47, 0xff, v144
	v_bfe_u32 v144, v144, 16, 8
	v_lshrrev_b32_e32 v60, 24, v145
	v_cvt_f32_bf8_e32 v131, v131
	v_bfe_u32 v183, v132, 8, 8
	v_bfe_u32 v59, v145, 8, 8
	v_cvt_f32_bf8_e32 v144, v144
	v_and_b32_e32 v44, 0xff, v134
	v_cvt_f32_bf8_e32 v40, v40
	v_cvt_f32_bf8_e32 v60, v60
	v_and_b32_e32 v58, 0xff, v145
	v_bfe_u32 v145, v145, 16, 8
	v_mul_f32_e32 v180, v180, v56
	v_cvt_f32_bf8_e32 v179, v179
	v_dual_mul_f32 v131, v131, v144 :: v_dual_mul_f32 v144, v181, v57
	v_cvt_f32_bf8_e32 v47, v47
	v_and_b32_e32 v182, 0xff, v132
	v_bfe_u32 v132, v132, 16, 8
	v_cvt_f32_bf8_e32 v145, v145
	v_cvt_f32_bf8_e32 v183, v183
	;; [unrolled: 1-line block ×3, first 2 shown]
	v_and_b32_e32 v41, 0xff, v133
	v_cvt_f32_bf8_e32 v132, v132
	v_and_b32_e32 v61, 0xff, v146
	v_mul_f32_e32 v179, v179, v47
	v_cvt_f32_bf8_e32 v182, v182
	v_bfe_u32 v42, v133, 8, 8
	v_mul_f32_e32 v132, v132, v145
	v_mul_f32_e32 v145, v40, v60
	v_cvt_f32_bf8_e32 v58, v58
	v_and_b32_e32 v72, 0xff, v147
	v_bfe_u32 v45, v134, 8, 8
	v_bfe_u32 v62, v146, 8, 8
	;; [unrolled: 1-line block ×3, first 2 shown]
	v_cvt_f32_bf8_e32 v44, v44
	v_cvt_f32_bf8_e32 v61, v61
	v_mul_f32_e32 v181, v182, v58
	v_cvt_f32_bf8_e32 v72, v72
	v_mul_f32_e32 v182, v183, v59
	v_cvt_f32_bf8_e32 v41, v41
	v_lshrrev_b32_e32 v43, 24, v133
	v_bfe_u32 v133, v133, 16, 8
	v_lshrrev_b32_e32 v46, 24, v134
	v_bfe_u32 v134, v134, 16, 8
	;; [unrolled: 2-line block ×4, first 2 shown]
	v_cvt_f32_bf8_e32 v42, v42
	v_cvt_f32_bf8_e32 v45, v45
	;; [unrolled: 1-line block ×4, first 2 shown]
	v_mul_f32_e32 v183, v41, v61
	v_mul_f32_e32 v41, v44, v72
	v_med3_num_f32 v44, v180, s59, 0xc7600000
	v_cmp_nlg_f32_e64 s14, 0x7f800000, |v180|
	v_cvt_f32_bf8_e32 v133, v133
	v_cvt_f32_bf8_e32 v134, v134
	v_cvt_f32_bf8_e32 v146, v146
	v_cvt_f32_bf8_e32 v147, v147
	v_mul_f32_e32 v40, v42, v62
	v_mul_f32_e32 v42, v45, v73
	v_med3_num_f32 v45, v131, s59, 0xc7600000
	v_cmp_nlg_f32_e64 s15, 0x7f800000, |v131|
	s_wait_alu 0xf1ff
	v_cndmask_b32_e64 v180, v44, v180, s14
	v_cvt_f32_bf8_e32 v43, v43
	v_cvt_f32_bf8_e32 v46, v46
	;; [unrolled: 1-line block ×4, first 2 shown]
	v_mul_f32_e32 v133, v133, v146
	v_med3_num_f32 v57, v132, s59, 0xc7600000
	v_cmp_nlg_f32_e64 s19, 0x7f800000, |v132|
	v_cndmask_b32_e64 v131, v45, v131, s15
	v_cvt_pk_bf8_f32 v148, v180, v180
	v_mul_f32_e32 v134, v134, v147
	v_mul_f32_e32 v146, v43, v63
	v_cmp_nlg_f32_e64 s16, 0x7f800000, |v144|
	v_med3_num_f32 v56, v182, s59, 0xc7600000
	v_cmp_nlg_f32_e64 s18, 0x7f800000, |v182|
	v_med3_num_f32 v60, v40, s59, 0xc7600000
	v_cmp_nlg_f32_e64 s22, 0x7f800000, |v40|
	v_med3_num_f32 v61, v133, s59, 0xc7600000
	v_cmp_nlg_f32_e64 s23, 0x7f800000, |v133|
	v_med3_num_f32 v72, v42, s59, 0xc7600000
	v_cmp_nlg_f32_e64 s26, 0x7f800000, |v42|
	s_wait_alu 0xf1ff
	v_cndmask_b32_e64 v132, v57, v132, s19
	v_cvt_pk_bf8_f32 v149, v131, v131
	v_mul_f32_e32 v147, v46, v74
	v_med3_num_f32 v46, v144, s59, 0xc7600000
	v_lshlrev_b32_e32 v131, 8, v148
	v_med3_num_f32 v73, v134, s59, 0xc7600000
	v_cmp_nlg_f32_e64 s27, 0x7f800000, |v134|
	v_med3_num_f32 v43, v179, s59, 0xc7600000
	v_med3_num_f32 v47, v181, s59, 0xc7600000
	v_cmp_nlg_f32_e64 s17, 0x7f800000, |v181|
	v_med3_num_f32 v58, v145, s59, 0xc7600000
	v_cmp_nlg_f32_e64 s20, 0x7f800000, |v145|
	;; [unrolled: 2-line block ×5, first 2 shown]
	v_cmp_nlg_f32_e64 s29, 0x7f800000, |v179|
	v_cndmask_b32_e64 v144, v46, v144, s16
	v_cndmask_b32_e64 v182, v56, v182, s18
	;; [unrolled: 1-line block ×5, first 2 shown]
	s_wait_alu 0xf1ff
	v_cndmask_b32_e64 v134, v73, v134, s27
	v_cvt_pk_bf8_f32 v161, v132, v132
	v_and_b32_e32 v132, 0xff, v149
	v_med3_num_f32 v74, v147, s59, 0xc7600000
	v_cmp_nlg_f32_e64 s28, 0x7f800000, |v147|
	v_cndmask_b32_e64 v179, v43, v179, s29
	v_cndmask_b32_e64 v181, v47, v181, s17
	;; [unrolled: 1-line block ×6, first 2 shown]
	s_wait_alu 0xf1ff
	v_cndmask_b32_e64 v147, v74, v147, s28
	v_cvt_pk_bf8_f32 v150, v144, v144
	v_cvt_pk_bf8_f32 v160, v182, v182
	v_cvt_pk_bf8_f32 v164, v40, v40
	v_cvt_pk_bf8_f32 v165, v133, v133
	v_cvt_pk_bf8_f32 v176, v42, v42
	v_cvt_pk_bf8_f32 v177, v134, v134
	v_cvt_pk_bf8_f32 v135, v179, v179
	v_cvt_pk_bf8_f32 v151, v181, v181
	v_cvt_pk_bf8_f32 v162, v145, v145
	v_cvt_pk_bf8_f32 v163, v183, v183
	v_cvt_pk_bf8_f32 v166, v146, v146
	v_cvt_pk_bf8_f32 v167, v41, v41
	v_cvt_pk_bf8_f32 v178, v147, v147
	v_lshlrev_b32_e32 v133, 24, v150
	v_lshlrev_b32_e32 v134, 8, v160
	v_and_b32_e32 v144, 0xff, v161
	v_lshlrev_b32_e32 v146, 8, v164
	v_and_b32_e32 v147, 0xff, v165
	;; [unrolled: 2-line block ×3, first 2 shown]
	v_lshlrev_b32_e32 v145, 24, v162
	v_lshlrev_b32_e32 v148, 24, v166
	;; [unrolled: 1-line block ×4, first 2 shown]
	v_perm_b32 v131, v131, v135, 0xc0c0500
	v_lshlrev_b32_e32 v135, 16, v144
	v_perm_b32 v134, v134, v151, 0xc0c0500
	v_lshlrev_b32_e32 v144, 16, v147
	;; [unrolled: 2-line block ×3, first 2 shown]
	v_perm_b32 v149, v149, v167, 0xc0c0500
	v_or3_b32 v131, v133, v132, v131
	v_or3_b32 v132, v145, v135, v134
	;; [unrolled: 1-line block ×3, first 2 shown]
	s_delay_alu instid0(VALU_DEP_4)
	v_or3_b32 v134, v160, v147, v149
	global_store_b128 v[66:67], v[131:134], off th:TH_STORE_NT
	v_add_co_u32 v66, s14, v66, v96
	s_wait_alu 0xf1ff
	v_add_co_ci_u32_e64 v67, null, 0, v67, s14
	s_wait_alu 0xfffe
	s_and_not1_b32 exec_lo, exec_lo, s91
	s_cbranch_execnz .LBB2_351
; %bb.352:                              ;   in Loop: Header=BB2_274 Depth=3
	s_or_b32 exec_lo, exec_lo, s91
.LBB2_353:                              ;   in Loop: Header=BB2_274 Depth=3
	s_wait_alu 0xfffe
	s_or_b32 exec_lo, exec_lo, s90
	v_dual_mov_b32 v64, 0 :: v_dual_and_b32 v55, 15, v3
	s_mov_b32 s14, 0
	s_mov_b32 s90, exec_lo
                                        ; implicit-def: $vgpr65
                                        ; implicit-def: $vgpr66
                                        ; implicit-def: $vgpr54
	s_delay_alu instid0(VALU_DEP_1) | instskip(NEXT) | instid1(VALU_DEP_1)
	v_cndmask_b32_e32 v128, v129, v55, vcc_lo
	v_cmpx_ne_u32_e32 0, v128
	s_cbranch_execz .LBB2_361
; %bb.354:                              ;   in Loop: Header=BB2_274 Depth=3
	v_cmp_lt_i32_e64 s13, 0, v130
	v_ashrrev_i32_e32 v65, 31, v128
	v_sub_nc_u32_e32 v55, v129, v55
	s_mov_b32 s91, exec_lo
	s_wait_alu 0xf1ff
	v_cndmask_b32_e64 v54, 0, v81, s13
	v_lshrrev_b32_e32 v65, 23, v65
	v_cndmask_b32_e32 v55, 0, v55, vcc_lo
	s_delay_alu instid0(VALU_DEP_3) | instskip(NEXT) | instid1(VALU_DEP_3)
	v_sub_nc_u32_e32 v54, v54, v130
	v_add_nc_u32_e32 v65, v128, v65
	s_delay_alu instid0(VALU_DEP_3) | instskip(NEXT) | instid1(VALU_DEP_3)
	v_add_nc_u32_e32 v9, v55, v9
	v_lshl_add_u32 v54, v54, 5, v114
	s_delay_alu instid0(VALU_DEP_3) | instskip(SKIP_1) | instid1(VALU_DEP_3)
	v_and_b32_e32 v130, 0xfffffe00, v65
	v_ashrrev_i32_e32 v65, 9, v65
	v_ashrrev_i32_e32 v64, 31, v54
	s_delay_alu instid0(VALU_DEP_3) | instskip(NEXT) | instid1(VALU_DEP_2)
	v_sub_nc_u32_e32 v129, v128, v130
	v_lshrrev_b32_e32 v64, 27, v64
	s_delay_alu instid0(VALU_DEP_2) | instskip(NEXT) | instid1(VALU_DEP_2)
	v_cmp_lt_i32_e32 vcc_lo, 15, v129
	v_add_nc_u32_e32 v64, v54, v64
	s_wait_alu 0xfffd
	v_add_co_ci_u32_e64 v65, null, 0, v65, vcc_lo
	s_delay_alu instid0(VALU_DEP_2) | instskip(SKIP_1) | instid1(VALU_DEP_2)
	v_and_b32_e32 v66, 0xffffffe0, v64
	v_ashrrev_i32_e32 v64, 5, v64
	v_sub_nc_u32_e32 v131, v54, v66
	s_delay_alu instid0(VALU_DEP_2) | instskip(NEXT) | instid1(VALU_DEP_2)
	v_sub_nc_u32_e32 v132, v65, v64
	v_lshlrev_b32_e32 v54, 4, v131
	s_delay_alu instid0(VALU_DEP_1) | instskip(NEXT) | instid1(VALU_DEP_1)
	v_lshl_add_u32 v54, v64, 9, v54
	v_sub_nc_u32_e32 v133, v128, v54
	s_delay_alu instid0(VALU_DEP_1)
	v_cmpx_lt_i32_e32 15, v133
	s_cbranch_execz .LBB2_358
; %bb.355:                              ;   in Loop: Header=BB2_274 Depth=3
	s_trap 2
	ds_load_b64 v[64:65], v0
	v_add_nc_u32_e32 v66, v54, v9
	s_mov_b32 s92, 0
	s_delay_alu instid0(VALU_DEP_1) | instskip(SKIP_2) | instid1(VALU_DEP_2)
	v_ashrrev_i32_e32 v67, 31, v66
	v_add_co_u32 v54, s13, v66, v50
	s_wait_alu 0xf1ff
	v_add_co_ci_u32_e64 v55, null, v67, v51, s13
	s_wait_dscnt 0x0
	v_add_co_u32 v64, s13, v64, v66
	s_wait_alu 0xf1ff
	v_add_co_ci_u32_e64 v65, null, v65, v67, s13
	v_add_co_u32 v66, s13, v66, v52
	s_wait_alu 0xf1ff
	v_add_co_ci_u32_e64 v67, null, v67, v53, s13
.LBB2_356:                              ;   Parent Loop BB2_47 Depth=1
                                        ;     Parent Loop BB2_271 Depth=2
                                        ;       Parent Loop BB2_274 Depth=3
                                        ; =>      This Inner Loop Header: Depth=4
	global_load_b128 v[144:147], v[64:65], off th:TH_LOAD_NT
	global_load_b128 v[148:151], v[54:55], off th:TH_LOAD_NT
	v_dual_mov_b32 v134, 0 :: v_dual_mov_b32 v135, 0
	v_dual_mov_b32 v160, 0 :: v_dual_mov_b32 v161, 0
	;; [unrolled: 1-line block ×8, first 2 shown]
	v_sub_nc_u32_e32 v133, v133, v96
	v_add_co_u32 v54, s13, v54, v96
	s_wait_alu 0xf1ff
	v_add_co_ci_u32_e64 v55, null, 0, v55, s13
	v_add_co_u32 v64, s13, v64, v96
	s_wait_alu 0xf1ff
	v_add_co_ci_u32_e64 v65, null, 0, v65, s13
	v_cmp_gt_i32_e64 s13, 16, v133
	v_sub_nc_u32_e32 v132, v132, v81
	s_wait_alu 0xfffe
	s_or_b32 s92, s13, s92
	s_wait_loadcnt 0x1
	v_bfe_u32 v183, v144, 8, 8
	v_bfe_u32 v42, v145, 8, 8
	s_wait_loadcnt 0x0
	v_bfe_u32 v59, v148, 8, 8
	v_bfe_u32 v62, v149, 8, 8
	v_lshrrev_b32_e32 v40, 24, v144
	v_lshrrev_b32_e32 v60, 24, v148
	v_cvt_f32_bf8_e32 v183, v183
	v_cvt_f32_bf8_e32 v42, v42
	;; [unrolled: 1-line block ×3, first 2 shown]
	v_and_b32_e32 v182, 0xff, v144
	v_bfe_u32 v144, v144, 16, 8
	v_cvt_f32_bf8_e32 v62, v62
	v_and_b32_e32 v58, 0xff, v148
	v_bfe_u32 v148, v148, 16, 8
	v_lshrrev_b32_e32 v43, 24, v145
	v_lshrrev_b32_e32 v63, 24, v149
	v_cvt_f32_bf8_e32 v144, v144
	v_cvt_f32_bf8_e32 v40, v40
	;; [unrolled: 1-line block ×5, first 2 shown]
	v_and_b32_e32 v61, 0xff, v149
	v_bfe_u32 v149, v149, 16, 8
	v_mul_f32_e32 v183, v183, v59
	v_cvt_f32_bf8_e32 v182, v182
	v_and_b32_e32 v41, 0xff, v145
	v_bfe_u32 v145, v145, 16, 8
	v_bfe_u32 v45, v146, 8, 8
	v_lshrrev_b32_e32 v46, 24, v146
	v_dual_mul_f32 v144, v144, v148 :: v_dual_and_b32 v47, 0xff, v147
	v_bfe_u32 v56, v147, 8, 8
	v_lshrrev_b32_e32 v57, 24, v147
	v_bfe_u32 v147, v147, 16, 8
	v_bfe_u32 v73, v150, 8, 8
	v_lshrrev_b32_e32 v74, 24, v150
	v_bfe_u32 v76, v151, 8, 8
	v_lshrrev_b32_e32 v77, 24, v151
	v_cvt_f32_bf8_e32 v145, v145
	v_cvt_f32_bf8_e32 v43, v43
	v_cvt_f32_bf8_e32 v149, v149
	v_and_b32_e32 v44, 0xff, v146
	v_bfe_u32 v146, v146, 16, 8
	v_cvt_f32_bf8_e32 v63, v63
	v_and_b32_e32 v72, 0xff, v150
	v_bfe_u32 v150, v150, 16, 8
	v_mul_f32_e32 v182, v182, v58
	v_cvt_f32_bf8_e32 v41, v41
	v_mul_f32_e32 v148, v40, v60
	v_cvt_f32_bf8_e32 v61, v61
	v_and_b32_e32 v75, 0xff, v151
	v_bfe_u32 v151, v151, 16, 8
	v_cvt_f32_bf8_e32 v45, v45
	v_cvt_f32_bf8_e32 v146, v146
	;; [unrolled: 1-line block ×10, first 2 shown]
	v_mul_f32_e32 v145, v145, v149
	v_cvt_f32_bf8_e32 v44, v44
	v_mul_f32_e32 v149, v43, v63
	v_cvt_f32_bf8_e32 v72, v72
	v_cvt_f32_bf8_e32 v47, v47
	;; [unrolled: 1-line block ×4, first 2 shown]
	v_mul_f32_e32 v40, v41, v61
	v_cvt_f32_bf8_e32 v75, v75
	v_dual_mul_f32 v41, v42, v62 :: v_dual_mul_f32 v42, v44, v72
	v_dual_mul_f32 v43, v45, v73 :: v_dual_mul_f32 v146, v146, v150
	;; [unrolled: 1-line block ×3, first 2 shown]
	v_mul_f32_e32 v147, v147, v151
	v_dual_mul_f32 v44, v47, v75 :: v_dual_mul_f32 v151, v57, v77
	v_med3_num_f32 v47, v183, s59, 0xc7600000
	v_cmp_nlg_f32_e64 s14, 0x7f800000, |v183|
	v_med3_num_f32 v56, v144, s59, 0xc7600000
	v_cmp_nlg_f32_e64 s15, 0x7f800000, |v144|
	;; [unrolled: 2-line block ×9, first 2 shown]
	v_med3_num_f32 v46, v182, s59, 0xc7600000
	v_med3_num_f32 v58, v40, s59, 0xc7600000
	v_cmp_nlg_f32_e64 s17, 0x7f800000, |v40|
	v_med3_num_f32 v61, v149, s59, 0xc7600000
	v_cmp_nlg_f32_e64 s20, 0x7f800000, |v149|
	;; [unrolled: 2-line block ×6, first 2 shown]
	v_cmp_nlg_f32_e64 s29, 0x7f800000, |v182|
	s_wait_alu 0xf1ff
	v_cndmask_b32_e64 v183, v47, v183, s14
	v_cndmask_b32_e64 v144, v56, v144, s15
	;; [unrolled: 1-line block ×16, first 2 shown]
	v_cvt_pk_bf8_f32 v135, v183, v183
	v_cvt_pk_bf8_f32 v160, v144, v144
	;; [unrolled: 1-line block ×16, first 2 shown]
	v_lshlrev_b32_e32 v135, 8, v135
	v_and_b32_e32 v144, 0xff, v160
	v_lshlrev_b32_e32 v145, 24, v161
	v_lshlrev_b32_e32 v146, 8, v163
	v_and_b32_e32 v147, 0xff, v164
	v_lshlrev_b32_e32 v149, 8, v167
	v_and_b32_e32 v150, 0xff, v176
	;; [unrolled: 2-line block ×3, first 2 shown]
	v_lshlrev_b32_e32 v148, 24, v165
	v_lshlrev_b32_e32 v151, 24, v177
	;; [unrolled: 1-line block ×4, first 2 shown]
	v_perm_b32 v134, v135, v134, 0xc0c0500
	v_lshlrev_b32_e32 v135, 16, v147
	v_perm_b32 v146, v146, v162, 0xc0c0500
	v_lshlrev_b32_e32 v147, 16, v150
	;; [unrolled: 2-line block ×3, first 2 shown]
	v_perm_b32 v160, v160, v178, 0xc0c0500
	v_or3_b32 v144, v145, v144, v134
	v_or3_b32 v145, v148, v135, v146
	v_or3_b32 v146, v151, v147, v149
	s_delay_alu instid0(VALU_DEP_4)
	v_or3_b32 v147, v163, v150, v160
	global_store_b128 v[66:67], v[144:147], off th:TH_STORE_NT
	v_add_co_u32 v66, s14, v66, v96
	s_wait_alu 0xf1ff
	v_add_co_ci_u32_e64 v67, null, 0, v67, s14
	s_wait_alu 0xfffe
	s_and_not1_b32 exec_lo, exec_lo, s92
	s_cbranch_execnz .LBB2_356
; %bb.357:                              ;   in Loop: Header=BB2_274 Depth=3
	s_or_b32 exec_lo, exec_lo, s92
.LBB2_358:                              ;   in Loop: Header=BB2_274 Depth=3
	s_wait_alu 0xfffe
	s_or_b32 exec_lo, exec_lo, s91
	v_dual_mov_b32 v64, 0 :: v_dual_and_b32 v55, 15, v128
	s_mov_b32 s14, 0
	s_mov_b32 s15, exec_lo
                                        ; implicit-def: $vgpr66
                                        ; implicit-def: $vgpr54
	s_delay_alu instid0(VALU_DEP_1) | instskip(NEXT) | instid1(VALU_DEP_1)
	v_cndmask_b32_e32 v65, v129, v55, vcc_lo
	v_cmpx_ne_u32_e32 0, v65
	s_cbranch_execz .LBB2_360
; %bb.359:                              ;   in Loop: Header=BB2_274 Depth=3
	v_cmp_lt_i32_e64 s13, 0, v132
	v_sub_nc_u32_e32 v55, v129, v55
	s_mov_b32 s14, exec_lo
	s_wait_alu 0xf1ff
	v_cndmask_b32_e64 v54, 0, v81, s13
	s_delay_alu instid0(VALU_DEP_1) | instskip(NEXT) | instid1(VALU_DEP_1)
	v_sub_nc_u32_e32 v54, v54, v132
	v_lshl_add_u32 v66, v54, 5, v131
	s_delay_alu instid0(VALU_DEP_1) | instskip(NEXT) | instid1(VALU_DEP_1)
	v_ashrrev_i32_e32 v54, 31, v66
	v_lshrrev_b32_e32 v54, 27, v54
	s_delay_alu instid0(VALU_DEP_1) | instskip(NEXT) | instid1(VALU_DEP_1)
	v_dual_cndmask_b32 v55, 0, v55 :: v_dual_add_nc_u32 v54, v66, v54
	v_add3_u32 v64, v130, v9, v55
	s_delay_alu instid0(VALU_DEP_2)
	v_ashrrev_i32_e32 v54, 5, v54
.LBB2_360:                              ;   in Loop: Header=BB2_274 Depth=3
	s_wait_alu 0xfffe
	s_or_b32 exec_lo, exec_lo, s15
	s_delay_alu instid0(SALU_CYCLE_1)
	s_and_b32 s14, s14, exec_lo
.LBB2_361:                              ;   in Loop: Header=BB2_274 Depth=3
	s_wait_alu 0xfffe
	s_or_b32 exec_lo, exec_lo, s90
	s_and_saveexec_b32 s21, s14
	s_cbranch_execz .LBB2_370
.LBB2_362:                              ;   in Loop: Header=BB2_274 Depth=3
	v_ashrrev_i32_e32 v9, 31, v65
	v_ashrrev_i32_e32 v55, 31, v66
	s_mov_b32 s22, exec_lo
	s_delay_alu instid0(VALU_DEP_2) | instskip(NEXT) | instid1(VALU_DEP_2)
	v_lshrrev_b32_e32 v9, 24, v9
	v_lshrrev_b32_e32 v67, 27, v55
	s_delay_alu instid0(VALU_DEP_2) | instskip(NEXT) | instid1(VALU_DEP_1)
	v_add_nc_u32_e32 v9, v65, v9
	v_ashrrev_i32_e32 v128, 8, v9
	s_delay_alu instid0(VALU_DEP_1) | instskip(NEXT) | instid1(VALU_DEP_1)
	v_sub_nc_u32_e32 v9, v128, v54
	v_cmpx_lt_i32_e32 0, v9
	s_cbranch_execz .LBB2_366
; %bb.363:                              ;   in Loop: Header=BB2_274 Depth=3
	v_add_nc_u32_e32 v55, v66, v67
	v_lshlrev_b32_e32 v130, 8, v54
	s_trap 2
	v_add_co_u32 v131, vcc_lo, 0xe0, v52
	s_delay_alu instid0(VALU_DEP_3)
	v_and_b32_e32 v129, 0xffffffe0, v55
	ds_load_b64 v[54:55], v0
	s_wait_alu 0xfffd
	v_add_co_ci_u32_e64 v132, null, 0, v53, vcc_lo
	s_mov_b32 s23, 0
	v_sub_nc_u32_e32 v129, v66, v129
	s_delay_alu instid0(VALU_DEP_1) | instskip(NEXT) | instid1(VALU_DEP_1)
	v_add3_u32 v129, v64, v129, v130
	v_ashrrev_i32_e32 v130, 31, v129
	v_add_co_u32 v50, vcc_lo, v129, v50
	s_wait_alu 0xfffd
	s_delay_alu instid0(VALU_DEP_2)
	v_add_co_ci_u32_e64 v51, null, v130, v51, vcc_lo
	s_wait_dscnt 0x0
	v_add_co_u32 v52, vcc_lo, v54, v129
	s_wait_alu 0xfffd
	v_add_co_ci_u32_e64 v53, null, v55, v130, vcc_lo
	v_add_co_u32 v54, vcc_lo, v131, v129
	s_wait_alu 0xfffd
	v_add_co_ci_u32_e64 v55, null, v132, v130, vcc_lo
.LBB2_364:                              ;   Parent Loop BB2_47 Depth=1
                                        ;     Parent Loop BB2_271 Depth=2
                                        ;       Parent Loop BB2_274 Depth=3
                                        ; =>      This Inner Loop Header: Depth=4
	flat_load_u8 v129, v[50:51] th:TH_LOAD_NT
	flat_load_u8 v130, v[52:53] th:TH_LOAD_NT
	flat_load_u8 v131, v[50:51] offset:32 th:TH_LOAD_NT
	flat_load_u8 v132, v[52:53] offset:32 th:TH_LOAD_NT
	;; [unrolled: 1-line block ×14, first 2 shown]
	v_dual_mov_b32 v161, 0 :: v_dual_mov_b32 v162, 0
	v_dual_mov_b32 v163, 0 :: v_dual_mov_b32 v164, 0
	;; [unrolled: 1-line block ×4, first 2 shown]
	v_sub_nc_u32_e32 v9, v9, v81
	v_add_co_u32 v50, vcc_lo, v50, v97
	s_wait_alu 0xfffd
	v_add_co_ci_u32_e64 v51, null, 0, v51, vcc_lo
	v_add_co_u32 v52, vcc_lo, v52, v97
	s_wait_alu 0xfffd
	v_add_co_ci_u32_e64 v53, null, 0, v53, vcc_lo
	v_cmp_gt_i32_e32 vcc_lo, 1, v9
	s_wait_alu 0xfffe
	s_or_b32 s23, vcc_lo, s23
	s_wait_loadcnt_dscnt 0xf0f
	v_cvt_f32_bf8_e32 v129, v129
	s_wait_loadcnt_dscnt 0xe0e
	v_cvt_f32_bf8_e32 v130, v130
	;; [unrolled: 2-line block ×16, first 2 shown]
	v_dual_mul_f32 v129, v129, v130 :: v_dual_mul_f32 v130, v131, v132
	v_dual_mul_f32 v131, v133, v134 :: v_dual_mul_f32 v132, v135, v144
	v_dual_mul_f32 v133, v145, v146 :: v_dual_mul_f32 v134, v147, v148
	s_delay_alu instid0(VALU_DEP_4) | instskip(NEXT) | instid1(VALU_DEP_4)
	v_dual_mul_f32 v135, v149, v150 :: v_dual_mul_f32 v144, v151, v160
	v_med3_num_f32 v145, v129, s59, 0xc7600000
	v_cmp_nlg_f32_e64 s20, 0x7f800000, |v129|
	v_med3_num_f32 v146, v130, s59, 0xc7600000
	v_cmp_nlg_f32_e64 s13, 0x7f800000, |v130|
	;; [unrolled: 2-line block ×8, first 2 shown]
	s_wait_alu 0xf1ff
	v_cndmask_b32_e64 v129, v145, v129, s20
	v_cndmask_b32_e64 v130, v146, v130, s13
	;; [unrolled: 1-line block ×8, first 2 shown]
	v_cvt_pk_bf8_f32 v161, v129, v129
	v_cvt_pk_bf8_f32 v162, v130, v130
	;; [unrolled: 1-line block ×8, first 2 shown]
	s_clause 0x7
	flat_store_b8 v[54:55], v161 offset:-224 th:TH_STORE_NT
	flat_store_b8 v[54:55], v162 offset:-192 th:TH_STORE_NT
	;; [unrolled: 1-line block ×7, first 2 shown]
	flat_store_b8 v[54:55], v176 th:TH_STORE_NT
	v_add_co_u32 v54, s13, v54, v97
	s_wait_alu 0xf1ff
	v_add_co_ci_u32_e64 v55, null, 0, v55, s13
	s_wait_alu 0xfffe
	s_and_not1_b32 exec_lo, exec_lo, s23
	s_cbranch_execnz .LBB2_364
; %bb.365:                              ;   in Loop: Header=BB2_274 Depth=3
	s_or_b32 exec_lo, exec_lo, s23
.LBB2_366:                              ;   in Loop: Header=BB2_274 Depth=3
	s_wait_alu 0xfffe
	s_or_b32 exec_lo, exec_lo, s22
	v_lshlrev_b32_e32 v50, 8, v128
	s_delay_alu instid0(VALU_DEP_1)
	v_cmp_ne_u32_e32 vcc_lo, v65, v50
	s_and_b32 exec_lo, exec_lo, vcc_lo
	s_cbranch_execz .LBB2_370
; %bb.367:                              ;   in Loop: Header=BB2_274 Depth=3
	v_add_nc_u32_e32 v51, v66, v67
	v_lshlrev_b32_e32 v9, 5, v9
	s_delay_alu instid0(VALU_DEP_2) | instskip(NEXT) | instid1(VALU_DEP_1)
	v_and_b32_e32 v51, 0xffffffe0, v51
	v_sub_nc_u32_e32 v51, v66, v51
	s_delay_alu instid0(VALU_DEP_1) | instskip(NEXT) | instid1(VALU_DEP_1)
	v_sub_nc_u32_e32 v9, v51, v9
	v_add_nc_u32_e32 v50, v50, v9
	s_delay_alu instid0(VALU_DEP_1) | instskip(NEXT) | instid1(VALU_DEP_1)
	v_sub_nc_u32_e32 v9, v65, v50
	v_cmp_lt_i32_e32 vcc_lo, 0, v9
	s_and_b32 exec_lo, exec_lo, vcc_lo
	s_cbranch_execz .LBB2_370
; %bb.368:                              ;   in Loop: Header=BB2_274 Depth=3
	s_trap 2
	ds_load_b128 v[51:54], v0
	ds_load_b64 v[65:66], v0
	v_add_nc_u32_e32 v55, v50, v64
	s_mov_b32 s14, 0
	s_delay_alu instid0(VALU_DEP_1) | instskip(SKIP_3) | instid1(VALU_DEP_2)
	v_ashrrev_i32_e32 v64, 31, v55
	s_wait_dscnt 0x1
	v_add_co_u32 v50, vcc_lo, v51, v55
	s_wait_alu 0xfffd
	v_add_co_ci_u32_e64 v51, null, v52, v64, vcc_lo
	v_add_co_u32 v52, vcc_lo, v53, v55
	s_wait_alu 0xfffd
	v_add_co_ci_u32_e64 v53, null, v54, v64, vcc_lo
	s_wait_dscnt 0x0
	v_add_co_u32 v54, vcc_lo, v65, v55
	s_wait_alu 0xfffd
	v_add_co_ci_u32_e64 v55, null, v66, v64, vcc_lo
.LBB2_369:                              ;   Parent Loop BB2_47 Depth=1
                                        ;     Parent Loop BB2_271 Depth=2
                                        ;       Parent Loop BB2_274 Depth=3
                                        ; =>      This Inner Loop Header: Depth=4
	flat_load_u8 v64, v[52:53] th:TH_LOAD_NT
	flat_load_u8 v65, v[50:51] th:TH_LOAD_NT
	v_mov_b32_e32 v66, 0
	v_sub_nc_u32_e32 v9, v9, v82
	v_add_co_u32 v50, vcc_lo, v50, v82
	s_wait_alu 0xfffd
	v_add_co_ci_u32_e64 v51, null, 0, v51, vcc_lo
	v_add_co_u32 v52, vcc_lo, v52, v82
	s_wait_alu 0xfffd
	v_add_co_ci_u32_e64 v53, null, 0, v53, vcc_lo
	v_cmp_gt_i32_e32 vcc_lo, 1, v9
	s_wait_alu 0xfffe
	s_or_b32 s14, vcc_lo, s14
	s_wait_loadcnt_dscnt 0x101
	v_cvt_f32_bf8_e32 v64, v64
	s_wait_loadcnt_dscnt 0x0
	v_cvt_f32_bf8_e32 v65, v65
	s_delay_alu instid0(VALU_DEP_1) | instskip(NEXT) | instid1(VALU_DEP_1)
	v_mul_f32_e32 v64, v64, v65
	v_med3_num_f32 v65, v64, s59, 0xc7600000
	v_cmp_nlg_f32_e64 s13, 0x7f800000, |v64|
	s_wait_alu 0xf1ff
	s_delay_alu instid0(VALU_DEP_1) | instskip(NEXT) | instid1(VALU_DEP_1)
	v_cndmask_b32_e64 v64, v65, v64, s13
	v_cvt_pk_bf8_f32 v66, v64, v64
	flat_store_b8 v[54:55], v66 th:TH_STORE_NT
	v_add_co_u32 v54, s13, v54, v82
	s_wait_alu 0xf1ff
	v_add_co_ci_u32_e64 v55, null, 0, v55, s13
	s_wait_alu 0xfffe
	s_and_not1_b32 exec_lo, exec_lo, s14
	s_cbranch_execnz .LBB2_369
.LBB2_370:                              ;   in Loop: Header=BB2_274 Depth=3
	s_wait_alu 0xfffe
	s_or_b32 exec_lo, exec_lo, s21
	v_cmp_lt_i32_e64 s13, 0, v3
	s_and_saveexec_b32 s14, s2
	s_cbranch_execz .LBB2_389
.LBB2_371:                              ;   in Loop: Header=BB2_274 Depth=3
	s_and_saveexec_b32 s15, s3
	s_wait_alu 0xfffe
	s_xor_b32 s15, exec_lo, s15
	s_cbranch_execz .LBB2_386
; %bb.372:                              ;   in Loop: Header=BB2_274 Depth=3
	s_and_saveexec_b32 s16, s6
	s_cbranch_execz .LBB2_385
; %bb.373:                              ;   in Loop: Header=BB2_274 Depth=3
	s_mov_b32 s18, exec_lo
	s_mov_b32 s17, exec_lo
	s_wait_alu 0xfffe
	v_mbcnt_lo_u32_b32 v3, s18, 0
	s_wait_storecnt 0x0
	s_wait_loadcnt_dscnt 0x0
	global_inv scope:SCOPE_DEV
	v_cmpx_eq_u32_e32 0, v3
	s_cbranch_execz .LBB2_375
; %bb.374:                              ;   in Loop: Header=BB2_274 Depth=3
	s_bcnt1_i32_b32 s18, s18
	s_wait_alu 0xfffe
	v_dual_mov_b32 v51, v2 :: v_dual_mov_b32 v50, s18
	s_wait_loadcnt 0x0
	ds_add_u64 v0, v[50:51]
	s_trap 2
.LBB2_375:                              ;   in Loop: Header=BB2_274 Depth=3
	s_or_b32 exec_lo, exec_lo, s17
	s_trap 2
	ds_load_b64 v[50:51], v0
	s_wait_dscnt 0x0
	global_inv scope:SCOPE_SE
	v_add_co_u32 v12, vcc_lo, v12, v81
	s_wait_alu 0xfffd
	v_add_co_ci_u32_e64 v13, null, 0, v13, vcc_lo
	s_mov_b32 s17, exec_lo
	v_cmpx_lt_u64_e64 v[50:51], v[12:13]
	s_cbranch_execz .LBB2_384
; %bb.376:                              ;   in Loop: Header=BB2_274 Depth=3
	s_mov_b32 s18, 0
	s_mov_b32 s21, 0
                                        ; implicit-def: $sgpr19
                                        ; implicit-def: $sgpr20
	s_branch .LBB2_378
.LBB2_377:                              ;   in Loop: Header=BB2_378 Depth=4
	s_wait_alu 0xfffe
	s_or_b32 exec_lo, exec_lo, s23
	s_delay_alu instid0(SALU_CYCLE_1)
	s_and_b32 s22, exec_lo, s24
	s_wait_alu 0xfffe
	s_or_b32 s18, s22, s18
	s_and_not1_b32 s19, s19, exec_lo
	s_and_b32 s22, s20, exec_lo
	s_wait_alu 0xfffe
	s_or_b32 s19, s19, s22
	s_and_not1_b32 exec_lo, exec_lo, s18
	s_cbranch_execz .LBB2_382
.LBB2_378:                              ;   Parent Loop BB2_47 Depth=1
                                        ;     Parent Loop BB2_271 Depth=2
                                        ;       Parent Loop BB2_274 Depth=3
                                        ; =>      This Inner Loop Header: Depth=4
	s_wait_alu 0xfffe
	s_add_co_i32 s21, s21, 1
	s_wait_alu 0xfffe
	s_cmp_lg_u32 s21, 0x2710
	s_cselect_b32 s22, -1, 0
	s_wait_alu 0xfffe
	s_and_b32 vcc_lo, exec_lo, s22
	s_wait_alu 0xfffe
	s_cbranch_vccz .LBB2_380
; %bb.379:                              ;   in Loop: Header=BB2_378 Depth=4
	s_mov_b32 s24, -1
	s_or_b32 s20, s20, exec_lo
	s_and_saveexec_b32 s23, s22
	s_cbranch_execz .LBB2_377
	s_branch .LBB2_381
.LBB2_380:                              ;   in Loop: Header=BB2_378 Depth=4
	s_trap 2
	ds_load_b64 v[50:51], v0
	s_and_not1_b32 s22, s22, exec_lo
	s_mov_b32 s21, 0
	s_wait_loadcnt_dscnt 0x0
	flat_load_b32 v3, v[50:51] scope:SCOPE_SYS
	s_wait_loadcnt_dscnt 0x0
	global_inv scope:SCOPE_SYS
	v_cmp_eq_u32_e32 vcc_lo, 0, v3
	s_and_b32 s23, vcc_lo, exec_lo
	s_wait_alu 0xfffe
	s_or_b32 s22, s22, s23
	s_mov_b32 s24, -1
	s_or_b32 s20, s20, exec_lo
	s_wait_alu 0xfffe
	s_and_saveexec_b32 s23, s22
	s_cbranch_execz .LBB2_377
.LBB2_381:                              ;   in Loop: Header=BB2_378 Depth=4
	s_sleep 1
	s_trap 2
	ds_load_b64 v[50:51], v0
	s_wait_dscnt 0x0
	global_inv scope:SCOPE_SE
	s_wait_alu 0xfffe
	s_and_not1_b32 s20, s20, exec_lo
	v_cmp_ge_u64_e32 vcc_lo, v[50:51], v[12:13]
	s_or_not1_b32 s24, vcc_lo, exec_lo
	s_branch .LBB2_377
.LBB2_382:                              ;   in Loop: Header=BB2_274 Depth=3
	s_or_b32 exec_lo, exec_lo, s18
	s_wait_alu 0xfffe
	s_and_saveexec_b32 s18, s19
	s_wait_alu 0xfffe
	s_xor_b32 s18, exec_lo, s18
	s_cbranch_execz .LBB2_384
; %bb.383:                              ;   in Loop: Header=BB2_274 Depth=3
	ds_store_b32 v0, v84
	s_trap 2
.LBB2_384:                              ;   in Loop: Header=BB2_274 Depth=3
	s_wait_alu 0xfffe
	s_or_b32 exec_lo, exec_lo, s17
	;;#ASMSTART
	s_wakeup
	;;#ASMEND
.LBB2_385:                              ;   in Loop: Header=BB2_274 Depth=3
	s_wait_alu 0xfffe
	s_or_b32 exec_lo, exec_lo, s16
.LBB2_386:                              ;   in Loop: Header=BB2_274 Depth=3
	s_wait_alu 0xfffe
	s_and_not1_saveexec_b32 s15, s15
	s_cbranch_execz .LBB2_388
; %bb.387:                              ;   in Loop: Header=BB2_274 Depth=3
	s_wait_storecnt 0x0
	s_wait_loadcnt_dscnt 0x0
	global_inv scope:SCOPE_DEV
	s_barrier_signal -1
	s_barrier_wait -1
.LBB2_388:                              ;   in Loop: Header=BB2_274 Depth=3
	s_wait_alu 0xfffe
	s_or_b32 exec_lo, exec_lo, s15
.LBB2_389:                              ;   in Loop: Header=BB2_274 Depth=3
	s_wait_alu 0xfffe
	s_or_b32 exec_lo, exec_lo, s14
	v_and_b32_e32 v3, 16, v70
	s_and_saveexec_b32 s14, s7
	s_wait_alu 0xfffe
	s_xor_b32 s14, exec_lo, s14
	s_cbranch_execz .LBB2_393
; %bb.390:                              ;   in Loop: Header=BB2_274 Depth=3
	v_and_b32_e32 v3, 16, v70
	s_delay_alu instid0(VALU_DEP_1)
	v_cmp_ne_u32_e32 vcc_lo, 0, v3
	v_and_b32_e32 v3, 16, v70
	s_and_b32 s15, vcc_lo, s13
	s_wait_alu 0xfffe
	s_and_saveexec_b32 s13, s15
	s_cbranch_execz .LBB2_392
; %bb.391:                              ;   in Loop: Header=BB2_274 Depth=3
	v_mov_b32_e32 v3, 1
	global_wb scope:SCOPE_SYS
	s_wait_storecnt 0x0
	s_wait_loadcnt_dscnt 0x0
	global_inv scope:SCOPE_SYS
.LBB2_392:                              ;   in Loop: Header=BB2_274 Depth=3
	s_wait_alu 0xfffe
	s_or_b32 exec_lo, exec_lo, s13
.LBB2_393:                              ;   in Loop: Header=BB2_274 Depth=3
	s_wait_alu 0xfffe
	s_and_not1_saveexec_b32 s13, s14
	s_cbranch_execz .LBB2_412
; %bb.394:                              ;   in Loop: Header=BB2_274 Depth=3
	s_and_saveexec_b32 s14, s3
	s_wait_alu 0xfffe
	s_xor_b32 s14, exec_lo, s14
	s_cbranch_execz .LBB2_409
; %bb.395:                              ;   in Loop: Header=BB2_274 Depth=3
	s_and_saveexec_b32 s15, s6
	s_cbranch_execz .LBB2_408
; %bb.396:                              ;   in Loop: Header=BB2_274 Depth=3
	s_mov_b32 s17, exec_lo
	s_mov_b32 s16, exec_lo
	s_wait_alu 0xfffe
	v_mbcnt_lo_u32_b32 v9, s17, 0
	;;#ASMSTART
	s_waitcnt lgkmcnt(0) vmcnt(0)
	;;#ASMEND
	s_delay_alu instid0(VALU_DEP_1)
	v_cmpx_eq_u32_e32 0, v9
	s_cbranch_execz .LBB2_398
; %bb.397:                              ;   in Loop: Header=BB2_274 Depth=3
	s_bcnt1_i32_b32 s17, s17
	s_wait_alu 0xfffe
	v_dual_mov_b32 v51, v2 :: v_dual_mov_b32 v50, s17
	s_wait_storecnt 0x0
	s_wait_loadcnt_dscnt 0x0
	ds_add_u64 v0, v[50:51]
	s_trap 2
.LBB2_398:                              ;   in Loop: Header=BB2_274 Depth=3
	s_or_b32 exec_lo, exec_lo, s16
	s_trap 2
	ds_load_b64 v[50:51], v0
	s_wait_dscnt 0x0
	global_inv scope:SCOPE_SE
	v_add_co_u32 v12, vcc_lo, v12, v81
	s_wait_alu 0xfffd
	v_add_co_ci_u32_e64 v13, null, 0, v13, vcc_lo
	s_mov_b32 s16, exec_lo
	v_cmpx_lt_u64_e64 v[50:51], v[12:13]
	s_cbranch_execz .LBB2_407
; %bb.399:                              ;   in Loop: Header=BB2_274 Depth=3
	s_mov_b32 s17, 0
	s_mov_b32 s20, 0
                                        ; implicit-def: $sgpr18
                                        ; implicit-def: $sgpr19
	s_branch .LBB2_401
.LBB2_400:                              ;   in Loop: Header=BB2_401 Depth=4
	s_wait_alu 0xfffe
	s_or_b32 exec_lo, exec_lo, s22
	s_delay_alu instid0(SALU_CYCLE_1)
	s_and_b32 s21, exec_lo, s23
	s_wait_alu 0xfffe
	s_or_b32 s17, s21, s17
	s_and_not1_b32 s18, s18, exec_lo
	s_and_b32 s21, s19, exec_lo
	s_wait_alu 0xfffe
	s_or_b32 s18, s18, s21
	s_and_not1_b32 exec_lo, exec_lo, s17
	s_cbranch_execz .LBB2_405
.LBB2_401:                              ;   Parent Loop BB2_47 Depth=1
                                        ;     Parent Loop BB2_271 Depth=2
                                        ;       Parent Loop BB2_274 Depth=3
                                        ; =>      This Inner Loop Header: Depth=4
	s_wait_alu 0xfffe
	s_add_co_i32 s20, s20, 1
	s_wait_alu 0xfffe
	s_cmp_lg_u32 s20, 0x2710
	s_cselect_b32 s21, -1, 0
	s_wait_alu 0xfffe
	s_and_b32 vcc_lo, exec_lo, s21
	s_wait_alu 0xfffe
	s_cbranch_vccz .LBB2_403
; %bb.402:                              ;   in Loop: Header=BB2_401 Depth=4
	s_mov_b32 s23, -1
	s_or_b32 s19, s19, exec_lo
	s_and_saveexec_b32 s22, s21
	s_cbranch_execz .LBB2_400
	s_branch .LBB2_404
.LBB2_403:                              ;   in Loop: Header=BB2_401 Depth=4
	s_trap 2
	ds_load_b64 v[50:51], v0
	s_and_not1_b32 s21, s21, exec_lo
	s_mov_b32 s20, 0
	s_wait_storecnt 0x0
	s_wait_loadcnt_dscnt 0x0
	flat_load_b32 v9, v[50:51] scope:SCOPE_SYS
	s_wait_loadcnt_dscnt 0x0
	global_inv scope:SCOPE_SYS
	v_cmp_eq_u32_e32 vcc_lo, 0, v9
	s_and_b32 s22, vcc_lo, exec_lo
	s_wait_alu 0xfffe
	s_or_b32 s21, s21, s22
	s_mov_b32 s23, -1
	s_or_b32 s19, s19, exec_lo
	s_wait_alu 0xfffe
	s_and_saveexec_b32 s22, s21
	s_cbranch_execz .LBB2_400
.LBB2_404:                              ;   in Loop: Header=BB2_401 Depth=4
	s_sleep 1
	s_trap 2
	ds_load_b64 v[50:51], v0
	s_wait_dscnt 0x0
	global_inv scope:SCOPE_SE
	s_wait_alu 0xfffe
	s_and_not1_b32 s19, s19, exec_lo
	v_cmp_ge_u64_e32 vcc_lo, v[50:51], v[12:13]
	s_or_not1_b32 s23, vcc_lo, exec_lo
	s_branch .LBB2_400
.LBB2_405:                              ;   in Loop: Header=BB2_274 Depth=3
	s_or_b32 exec_lo, exec_lo, s17
	s_wait_alu 0xfffe
	s_and_saveexec_b32 s17, s18
	s_wait_alu 0xfffe
	s_xor_b32 s17, exec_lo, s17
	s_cbranch_execz .LBB2_407
; %bb.406:                              ;   in Loop: Header=BB2_274 Depth=3
	ds_store_b32 v0, v84
	s_trap 2
.LBB2_407:                              ;   in Loop: Header=BB2_274 Depth=3
	s_wait_alu 0xfffe
	s_or_b32 exec_lo, exec_lo, s16
	;;#ASMSTART
	s_wakeup
	;;#ASMEND
.LBB2_408:                              ;   in Loop: Header=BB2_274 Depth=3
	s_wait_alu 0xfffe
	s_or_b32 exec_lo, exec_lo, s15
.LBB2_409:                              ;   in Loop: Header=BB2_274 Depth=3
	s_wait_alu 0xfffe
	s_and_not1_saveexec_b32 s14, s14
	s_cbranch_execz .LBB2_411
; %bb.410:                              ;   in Loop: Header=BB2_274 Depth=3
	;;#ASMSTART
	s_waitcnt lgkmcnt(0) vmcnt(0)
	;;#ASMEND
	s_barrier_signal -1
	s_barrier_wait -1
.LBB2_411:                              ;   in Loop: Header=BB2_274 Depth=3
	s_wait_alu 0xfffe
	s_or_b32 exec_lo, exec_lo, s14
.LBB2_412:                              ;   in Loop: Header=BB2_274 Depth=3
	s_wait_alu 0xfffe
	s_or_b32 exec_lo, exec_lo, s13
	v_cmp_ne_u32_e32 vcc_lo, 0, v3
	s_xor_b32 s13, s4, -1
	s_wait_alu 0xfffe
	s_and_b32 s14, vcc_lo, s13
	s_wait_alu 0xfffe
	s_and_saveexec_b32 s13, s14
	s_cbranch_execz .LBB2_414
; %bb.413:                              ;   in Loop: Header=BB2_274 Depth=3
	global_wb scope:SCOPE_SYS
	s_wait_storecnt 0x0
	s_wait_loadcnt_dscnt 0x0
	flat_store_b32 v[24:25], v84 scope:SCOPE_SYS
.LBB2_414:                              ;   in Loop: Header=BB2_274 Depth=3
	s_wait_alu 0xfffe
	s_or_b32 exec_lo, exec_lo, s13
	v_and_b32_e32 v3, 48, v70
	s_mov_b32 s13, exec_lo
	s_delay_alu instid0(VALU_DEP_1)
	v_cmpx_ne_u32_e32 0, v3
	s_cbranch_execz .LBB2_273
; %bb.415:                              ;   in Loop: Header=BB2_274 Depth=3
	v_add_co_u32 v38, vcc_lo, v38, 2
	s_wait_alu 0xfffd
	v_add_co_ci_u32_e64 v39, null, 0, v39, vcc_lo
	global_wb scope:SCOPE_SYS
	s_wait_storecnt 0x0
	s_wait_loadcnt_dscnt 0x0
	flat_store_b64 v[20:21], v[38:39] scope:SCOPE_SYS
	s_branch .LBB2_273
.LBB2_416:                              ;   in Loop: Header=BB2_271 Depth=2
	s_or_b32 exec_lo, exec_lo, s79
.LBB2_417:                              ;   in Loop: Header=BB2_271 Depth=2
	s_wait_alu 0xfffe
	s_or_b32 exec_lo, exec_lo, s47
	s_delay_alu instid0(SALU_CYCLE_1)
	s_mov_b32 s14, exec_lo
	v_cmpx_gt_i32_e32 2, v3
	s_cbranch_execz .LBB2_270
; %bb.418:                              ;   in Loop: Header=BB2_271 Depth=2
	v_cmp_eq_u32_e64 s16, 0, v3
	s_mov_b32 s15, 0
	s_branch .LBB2_420
.LBB2_419:                              ;   in Loop: Header=BB2_420 Depth=3
	s_wait_alu 0xfffe
	s_or_b32 exec_lo, exec_lo, s13
	v_add_nc_u32_e32 v69, v8, v69
	s_mov_b32 s16, 0
	s_and_not1_b32 exec_lo, exec_lo, s15
	s_cbranch_execz .LBB2_269
.LBB2_420:                              ;   Parent Loop BB2_47 Depth=1
                                        ;     Parent Loop BB2_271 Depth=2
                                        ; =>    This Loop Header: Depth=3
                                        ;         Child Loop BB2_426 Depth 4
                                        ;         Child Loop BB2_454 Depth 4
	;; [unrolled: 1-line block ×3, first 2 shown]
	s_delay_alu instid0(VALU_DEP_1) | instskip(SKIP_2) | instid1(VALU_DEP_2)
	v_sub_nc_u32_e32 v3, v68, v69
	v_and_b32_e32 v9, 12, v70
	s_mov_b32 s17, exec_lo
	v_min_i32_e32 v8, v8, v3
	s_delay_alu instid0(VALU_DEP_2)
	v_cmpx_ne_u32_e32 0, v9
	s_cbranch_execz .LBB2_446
; %bb.421:                              ;   in Loop: Header=BB2_420 Depth=3
	v_and_b32_e32 v3, 8, v70
	s_mov_b32 s18, exec_lo
	s_delay_alu instid0(VALU_DEP_1)
	v_add_co_u32 v50, vcc_lo, v26, v3
	s_wait_alu 0xfffd
	v_add_co_ci_u32_e64 v51, null, 0, v27, vcc_lo
	v_add_co_u32 v10, vcc_lo, v38, 2
	s_wait_alu 0xfffd
	v_add_co_ci_u32_e64 v11, null, 0, v39, vcc_lo
	s_delay_alu instid0(VALU_DEP_1)
	v_cmpx_lt_u64_e64 v[50:51], v[10:11]
	s_cbranch_execz .LBB2_433
; %bb.422:                              ;   in Loop: Header=BB2_420 Depth=3
	v_and_b32_e32 v9, 64, v70
	s_mov_b32 s19, 0
	s_mov_b32 s23, 0
                                        ; implicit-def: $sgpr20
                                        ; implicit-def: $sgpr21
                                        ; implicit-def: $sgpr22
	s_delay_alu instid0(VALU_DEP_1)
	v_cmp_eq_u32_e32 vcc_lo, 0, v9
	s_branch .LBB2_426
.LBB2_423:                              ;   in Loop: Header=BB2_426 Depth=4
	v_add_co_u32 v50, s13, v26, v3
	s_wait_alu 0xf1ff
	v_add_co_ci_u32_e64 v51, null, 0, v27, s13
	s_or_b32 s26, s26, exec_lo
	v_cmp_ge_u64_e64 s13, v[50:51], v[10:11]
	s_or_not1_b32 s25, s13, exec_lo
.LBB2_424:                              ;   in Loop: Header=BB2_426 Depth=4
	s_wait_alu 0xfffe
	s_or_b32 exec_lo, exec_lo, s28
	s_delay_alu instid0(SALU_CYCLE_1)
	s_and_not1_b32 s13, s22, exec_lo
	s_and_b32 s22, s26, exec_lo
	s_and_not1_b32 s21, s21, exec_lo
	s_and_b32 s25, s25, exec_lo
	s_wait_alu 0xfffe
	s_or_b32 s22, s13, s22
	s_or_b32 s21, s21, s25
.LBB2_425:                              ;   in Loop: Header=BB2_426 Depth=4
	s_wait_alu 0xfffe
	s_or_b32 exec_lo, exec_lo, s24
	s_delay_alu instid0(SALU_CYCLE_1)
	s_and_b32 s13, exec_lo, s21
	s_wait_alu 0xfffe
	s_or_b32 s19, s13, s19
	s_and_not1_b32 s13, s20, exec_lo
	s_and_b32 s20, s22, exec_lo
	s_wait_alu 0xfffe
	s_or_b32 s20, s13, s20
	s_and_not1_b32 exec_lo, exec_lo, s19
	s_cbranch_execz .LBB2_430
.LBB2_426:                              ;   Parent Loop BB2_47 Depth=1
                                        ;     Parent Loop BB2_271 Depth=2
                                        ;       Parent Loop BB2_420 Depth=3
                                        ; =>      This Inner Loop Header: Depth=4
	s_sleep 1
	flat_load_b64 v[26:27], v[20:21] scope:SCOPE_SYS
	s_wait_loadcnt_dscnt 0x0
	global_inv scope:SCOPE_SYS
	s_or_b32 s22, s22, exec_lo
	s_or_b32 s21, s21, exec_lo
                                        ; implicit-def: $vgpr9
	s_and_saveexec_b32 s24, vcc_lo
	s_cbranch_execz .LBB2_425
; %bb.427:                              ;   in Loop: Header=BB2_426 Depth=4
	s_wait_alu 0xfffe
	s_cmp_lt_i32 s23, 0x270f
	s_mov_b32 s25, -1
	s_cselect_b32 s27, -1, 0
	s_cmp_gt_i32 s23, 0x270e
	s_cbranch_scc0 .LBB2_429
; %bb.428:                              ;   in Loop: Header=BB2_426 Depth=4
	s_trap 2
	ds_load_b64 v[50:51], v0
	s_wait_alu 0xfffe
	s_and_not1_b32 s23, s27, exec_lo
	s_mov_b32 s26, 0
	s_wait_storecnt 0x0
	s_wait_loadcnt_dscnt 0x0
	flat_load_b32 v9, v[50:51] scope:SCOPE_SYS
	s_wait_loadcnt_dscnt 0x0
	global_inv scope:SCOPE_SYS
	v_cmp_eq_u32_e64 s13, 0, v9
	s_and_b32 s13, s13, exec_lo
	s_wait_alu 0xfffe
	s_or_b32 s27, s23, s13
	s_mov_b32 s23, 0
	s_wait_alu 0xfffe
	s_and_saveexec_b32 s28, s27
	s_cbranch_execz .LBB2_424
	s_branch .LBB2_423
.LBB2_429:                              ;   in Loop: Header=BB2_426 Depth=4
	s_add_co_i32 s23, s23, 1
	s_mov_b32 s26, -1
                                        ; implicit-def: $vgpr9
	s_wait_alu 0xfffe
	s_and_saveexec_b32 s28, s27
	s_cbranch_execz .LBB2_424
	s_branch .LBB2_423
.LBB2_430:                              ;   in Loop: Header=BB2_420 Depth=3
	s_or_b32 exec_lo, exec_lo, s19
	s_wait_alu 0xfffe
	s_xor_b32 s13, s20, -1
	s_wait_alu 0xfffe
	s_and_saveexec_b32 s19, s13
	s_wait_alu 0xfffe
	s_xor_b32 s13, exec_lo, s19
	s_cbranch_execz .LBB2_432
; %bb.431:                              ;   in Loop: Header=BB2_420 Depth=3
	v_or_b32_e32 v70, 64, v70
	s_wait_loadcnt 0x0
	s_wait_storecnt 0x0
	ds_store_b32 v0, v9
	s_trap 2
.LBB2_432:                              ;   in Loop: Header=BB2_420 Depth=3
	s_wait_alu 0xfffe
	s_or_b32 exec_lo, exec_lo, s13
.LBB2_433:                              ;   in Loop: Header=BB2_420 Depth=3
	s_wait_alu 0xfffe
	s_or_b32 exec_lo, exec_lo, s18
	v_and_b32_e32 v9, 0x108, v70
	s_mov_b32 s13, exec_lo
	;;#ASMSTART
	s_wakeup
	;;#ASMEND
                                        ; implicit-def: $vgpr50_vgpr51
	s_delay_alu instid0(VALU_DEP_1)
	v_cmpx_ne_u32_e32 0x108, v9
	s_wait_alu 0xfffe
	s_xor_b32 s13, exec_lo, s13
; %bb.434:                              ;   in Loop: Header=BB2_420 Depth=3
	v_dual_mov_b32 v51, v2 :: v_dual_and_b32 v50, 7, v38
                                        ; implicit-def: $vgpr38_vgpr39
; %bb.435:                              ;   in Loop: Header=BB2_420 Depth=3
	s_wait_alu 0xfffe
	s_and_not1_saveexec_b32 s13, s13
	s_cbranch_execz .LBB2_437
; %bb.436:                              ;   in Loop: Header=BB2_420 Depth=3
	v_dual_mov_b32 v51, v2 :: v_dual_and_b32 v50, 7, v38
	v_ashrrev_i32_e32 v9, 31, v8
	s_delay_alu instid0(VALU_DEP_2)
	v_mad_co_u64_u32 v[38:39], null, v50, 24, v[6:7]
	flat_store_b64 v[38:39], v[8:9] offset:8
.LBB2_437:                              ;   in Loop: Header=BB2_420 Depth=3
	s_wait_alu 0xfffe
	s_or_b32 exec_lo, exec_lo, s13
	v_and_b32_e32 v9, 0x100, v70
	s_mov_b32 s13, -1
	s_mov_b32 s18, exec_lo
                                        ; implicit-def: $vgpr38_vgpr39
	s_delay_alu instid0(VALU_DEP_1)
	v_cmpx_ne_u32_e32 0, v9
	s_cbranch_execz .LBB2_441
; %bb.438:                              ;   in Loop: Header=BB2_420 Depth=3
	v_mad_co_u64_u32 v[52:53], null, v50, 24, v[6:7]
	s_mov_b32 s19, exec_lo
	v_mov_b32_e32 v9, v53
	s_delay_alu instid0(VALU_DEP_1) | instskip(NEXT) | instid1(VALU_DEP_1)
	v_mad_co_u64_u32 v[38:39], null, v51, 24, v[9:10]
	v_mov_b32_e32 v53, v38
                                        ; implicit-def: $vgpr38_vgpr39
	flat_load_b32 v9, v[52:53]
	s_wait_loadcnt_dscnt 0x0
	v_cmp_ne_u32_e32 vcc_lo, 1, v9
	v_cmpx_eq_u32_e32 1, v9
	s_cbranch_execz .LBB2_440
; %bb.439:                              ;   in Loop: Header=BB2_420 Depth=3
	flat_load_b32 v38, v[52:53] offset:4 scope:SCOPE_SYS
	s_wait_loadcnt_dscnt 0x0
	v_ashrrev_i32_e32 v39, 31, v38
.LBB2_440:                              ;   in Loop: Header=BB2_420 Depth=3
	s_wait_alu 0xfffe
	s_or_b32 exec_lo, exec_lo, s19
	s_delay_alu instid0(SALU_CYCLE_1)
	s_or_not1_b32 s13, vcc_lo, exec_lo
.LBB2_441:                              ;   in Loop: Header=BB2_420 Depth=3
	s_wait_alu 0xfffe
	s_or_b32 exec_lo, exec_lo, s18
	s_and_saveexec_b32 s18, s13
; %bb.442:                              ;   in Loop: Header=BB2_420 Depth=3
	v_mul_lo_u32 v9, v51, v71
	v_mul_lo_u32 v51, v50, v80
	v_mad_co_u64_u32 v[38:39], null, v50, v71, 0
	s_delay_alu instid0(VALU_DEP_1)
	v_add3_u32 v39, v39, v51, v9
; %bb.443:                              ;   in Loop: Header=BB2_420 Depth=3
	s_wait_alu 0xfffe
	s_or_b32 exec_lo, exec_lo, s18
	v_cmp_eq_u32_e32 vcc_lo, 0, v3
	v_and_b32_e32 v9, 0x2000, v70
	s_mov_b32 s13, exec_lo
	s_wait_alu 0xfffd
	v_cndmask_b32_e32 v3, 0xc8, v85, vcc_lo
	v_add_co_u32 v38, vcc_lo, v22, v38
	s_wait_alu 0xfffd
	v_add_co_ci_u32_e64 v39, null, v23, v39, vcc_lo
	s_delay_alu instid0(VALU_DEP_3)
	v_add_nc_u32_e32 v3, v0, v3
	ds_store_b64 v3, v[38:39] offset:584
	v_cmpx_ne_u32_e32 0, v9
	s_cbranch_execz .LBB2_445
; %bb.444:                              ;   in Loop: Header=BB2_420 Depth=3
	ds_load_b64 v[38:39], v0 offset:872
	s_wait_dscnt 0x0
	v_add_co_u32 v38, vcc_lo, v38, 1
	s_wait_alu 0xfffd
	v_add_co_ci_u32_e64 v39, null, 0, v39, vcc_lo
	ds_store_b64 v0, v[38:39] offset:872
.LBB2_445:                              ;   in Loop: Header=BB2_420 Depth=3
	s_wait_alu 0xfffe
	s_or_b32 exec_lo, exec_lo, s13
	v_dual_mov_b32 v39, v11 :: v_dual_mov_b32 v38, v10
.LBB2_446:                              ;   in Loop: Header=BB2_420 Depth=3
	s_wait_alu 0xfffe
	s_or_b32 exec_lo, exec_lo, s17
	s_xor_b32 s13, s16, -1
	s_wait_alu 0xfffe
	s_and_b32 s13, exec_lo, s13
	s_wait_alu 0xfffe
	s_or_b32 s15, s13, s15
	s_and_saveexec_b32 s13, s2
	s_cbranch_execz .LBB2_465
; %bb.447:                              ;   in Loop: Header=BB2_420 Depth=3
	s_and_saveexec_b32 s16, s3
	s_wait_alu 0xfffe
	s_xor_b32 s16, exec_lo, s16
	s_cbranch_execz .LBB2_462
; %bb.448:                              ;   in Loop: Header=BB2_420 Depth=3
	s_and_saveexec_b32 s17, s6
	s_cbranch_execz .LBB2_461
; %bb.449:                              ;   in Loop: Header=BB2_420 Depth=3
	s_mov_b32 s19, exec_lo
	s_mov_b32 s18, exec_lo
	s_wait_alu 0xfffe
	v_mbcnt_lo_u32_b32 v3, s19, 0
	s_wait_storecnt 0x0
	s_wait_loadcnt_dscnt 0x0
	global_inv scope:SCOPE_DEV
	v_cmpx_eq_u32_e32 0, v3
	s_cbranch_execz .LBB2_451
; %bb.450:                              ;   in Loop: Header=BB2_420 Depth=3
	s_bcnt1_i32_b32 s19, s19
	s_wait_alu 0xfffe
	v_dual_mov_b32 v10, v2 :: v_dual_mov_b32 v9, s19
	s_wait_loadcnt 0x0
	ds_add_u64 v0, v[9:10]
	s_trap 2
.LBB2_451:                              ;   in Loop: Header=BB2_420 Depth=3
	s_or_b32 exec_lo, exec_lo, s18
	s_trap 2
	ds_load_b64 v[9:10], v0
	s_wait_dscnt 0x0
	global_inv scope:SCOPE_SE
	v_add_co_u32 v12, vcc_lo, v12, v81
	s_wait_alu 0xfffd
	v_add_co_ci_u32_e64 v13, null, 0, v13, vcc_lo
	s_mov_b32 s18, exec_lo
	v_cmpx_lt_u64_e64 v[9:10], v[12:13]
	s_cbranch_execz .LBB2_460
; %bb.452:                              ;   in Loop: Header=BB2_420 Depth=3
	s_mov_b32 s19, 0
	s_mov_b32 s22, 0
                                        ; implicit-def: $sgpr20
                                        ; implicit-def: $sgpr21
	s_branch .LBB2_454
.LBB2_453:                              ;   in Loop: Header=BB2_454 Depth=4
	s_wait_alu 0xfffe
	s_or_b32 exec_lo, exec_lo, s24
	s_delay_alu instid0(SALU_CYCLE_1)
	s_and_b32 s23, exec_lo, s25
	s_wait_alu 0xfffe
	s_or_b32 s19, s23, s19
	s_and_not1_b32 s20, s20, exec_lo
	s_and_b32 s23, s21, exec_lo
	s_wait_alu 0xfffe
	s_or_b32 s20, s20, s23
	s_and_not1_b32 exec_lo, exec_lo, s19
	s_cbranch_execz .LBB2_458
.LBB2_454:                              ;   Parent Loop BB2_47 Depth=1
                                        ;     Parent Loop BB2_271 Depth=2
                                        ;       Parent Loop BB2_420 Depth=3
                                        ; =>      This Inner Loop Header: Depth=4
	s_wait_alu 0xfffe
	s_add_co_i32 s22, s22, 1
	s_wait_alu 0xfffe
	s_cmp_lg_u32 s22, 0x2710
	s_cselect_b32 s23, -1, 0
	s_wait_alu 0xfffe
	s_and_b32 vcc_lo, exec_lo, s23
	s_wait_alu 0xfffe
	s_cbranch_vccz .LBB2_456
; %bb.455:                              ;   in Loop: Header=BB2_454 Depth=4
	s_mov_b32 s25, -1
	s_or_b32 s21, s21, exec_lo
	s_and_saveexec_b32 s24, s23
	s_cbranch_execz .LBB2_453
	s_branch .LBB2_457
.LBB2_456:                              ;   in Loop: Header=BB2_454 Depth=4
	s_trap 2
	ds_load_b64 v[9:10], v0
	s_and_not1_b32 s23, s23, exec_lo
	s_mov_b32 s22, 0
	s_wait_loadcnt_dscnt 0x0
	flat_load_b32 v3, v[9:10] scope:SCOPE_SYS
	s_wait_loadcnt_dscnt 0x0
	global_inv scope:SCOPE_SYS
	v_cmp_eq_u32_e32 vcc_lo, 0, v3
	s_and_b32 s24, vcc_lo, exec_lo
	s_wait_alu 0xfffe
	s_or_b32 s23, s23, s24
	s_mov_b32 s25, -1
	s_or_b32 s21, s21, exec_lo
	s_wait_alu 0xfffe
	s_and_saveexec_b32 s24, s23
	s_cbranch_execz .LBB2_453
.LBB2_457:                              ;   in Loop: Header=BB2_454 Depth=4
	s_sleep 1
	s_trap 2
	ds_load_b64 v[9:10], v0
	s_wait_dscnt 0x0
	global_inv scope:SCOPE_SE
	s_wait_alu 0xfffe
	s_and_not1_b32 s21, s21, exec_lo
	v_cmp_ge_u64_e32 vcc_lo, v[9:10], v[12:13]
	s_or_not1_b32 s25, vcc_lo, exec_lo
	s_branch .LBB2_453
.LBB2_458:                              ;   in Loop: Header=BB2_420 Depth=3
	s_or_b32 exec_lo, exec_lo, s19
	s_wait_alu 0xfffe
	s_and_saveexec_b32 s19, s20
	s_wait_alu 0xfffe
	s_xor_b32 s19, exec_lo, s19
	s_cbranch_execz .LBB2_460
; %bb.459:                              ;   in Loop: Header=BB2_420 Depth=3
	ds_store_b32 v0, v84
	s_trap 2
.LBB2_460:                              ;   in Loop: Header=BB2_420 Depth=3
	s_wait_alu 0xfffe
	s_or_b32 exec_lo, exec_lo, s18
	;;#ASMSTART
	s_wakeup
	;;#ASMEND
.LBB2_461:                              ;   in Loop: Header=BB2_420 Depth=3
	s_wait_alu 0xfffe
	s_or_b32 exec_lo, exec_lo, s17
.LBB2_462:                              ;   in Loop: Header=BB2_420 Depth=3
	s_wait_alu 0xfffe
	s_and_not1_saveexec_b32 s16, s16
	s_cbranch_execz .LBB2_464
; %bb.463:                              ;   in Loop: Header=BB2_420 Depth=3
	s_wait_storecnt 0x0
	s_wait_loadcnt_dscnt 0x0
	global_inv scope:SCOPE_DEV
	s_barrier_signal -1
	s_barrier_wait -1
.LBB2_464:                              ;   in Loop: Header=BB2_420 Depth=3
	s_wait_alu 0xfffe
	s_or_b32 exec_lo, exec_lo, s16
.LBB2_465:                              ;   in Loop: Header=BB2_420 Depth=3
	s_wait_alu 0xfffe
	s_or_b32 exec_lo, exec_lo, s13
                                        ; implicit-def: $vgpr3
	s_and_saveexec_b32 s13, s72
	s_wait_alu 0xfffe
	s_xor_b32 s13, exec_lo, s13
	s_cbranch_execz .LBB2_477
; %bb.466:                              ;   in Loop: Header=BB2_420 Depth=3
	s_and_saveexec_b32 s16, s3
	s_wait_alu 0xfffe
	s_xor_b32 s16, exec_lo, s16
	s_cbranch_execz .LBB2_482
; %bb.467:                              ;   in Loop: Header=BB2_420 Depth=3
	s_and_saveexec_b32 s17, s6
	s_cbranch_execz .LBB2_481
; %bb.468:                              ;   in Loop: Header=BB2_420 Depth=3
	s_mov_b32 s19, exec_lo
	s_mov_b32 s18, exec_lo
	s_wait_alu 0xfffe
	v_mbcnt_lo_u32_b32 v3, s19, 0
	;;#ASMSTART
	s_waitcnt lgkmcnt(0) vmcnt(0)
	;;#ASMEND
	s_delay_alu instid0(VALU_DEP_1)
	v_cmpx_eq_u32_e32 0, v3
	s_cbranch_execz .LBB2_470
; %bb.469:                              ;   in Loop: Header=BB2_420 Depth=3
	s_bcnt1_i32_b32 s19, s19
	s_wait_alu 0xfffe
	v_dual_mov_b32 v10, v2 :: v_dual_mov_b32 v9, s19
	s_wait_storecnt 0x0
	s_wait_loadcnt_dscnt 0x0
	ds_add_u64 v0, v[9:10]
	s_trap 2
.LBB2_470:                              ;   in Loop: Header=BB2_420 Depth=3
	s_or_b32 exec_lo, exec_lo, s18
	s_trap 2
	ds_load_b64 v[9:10], v0
	s_wait_dscnt 0x0
	global_inv scope:SCOPE_SE
	v_add_co_u32 v12, vcc_lo, v12, v81
	s_wait_alu 0xfffd
	v_add_co_ci_u32_e64 v13, null, 0, v13, vcc_lo
	s_mov_b32 s18, exec_lo
	v_cmpx_lt_u64_e64 v[9:10], v[12:13]
	s_cbranch_execz .LBB2_480
; %bb.471:                              ;   in Loop: Header=BB2_420 Depth=3
	s_mov_b32 s19, 0
	s_mov_b32 s22, 0
                                        ; implicit-def: $sgpr20
                                        ; implicit-def: $sgpr21
	s_branch .LBB2_473
.LBB2_472:                              ;   in Loop: Header=BB2_473 Depth=4
	s_wait_alu 0xfffe
	s_or_b32 exec_lo, exec_lo, s24
	s_delay_alu instid0(SALU_CYCLE_1)
	s_and_b32 s23, exec_lo, s25
	s_wait_alu 0xfffe
	s_or_b32 s19, s23, s19
	s_and_not1_b32 s20, s20, exec_lo
	s_and_b32 s23, s21, exec_lo
	s_wait_alu 0xfffe
	s_or_b32 s20, s20, s23
	s_and_not1_b32 exec_lo, exec_lo, s19
	s_cbranch_execz .LBB2_478
.LBB2_473:                              ;   Parent Loop BB2_47 Depth=1
                                        ;     Parent Loop BB2_271 Depth=2
                                        ;       Parent Loop BB2_420 Depth=3
                                        ; =>      This Inner Loop Header: Depth=4
	s_wait_alu 0xfffe
	s_add_co_i32 s22, s22, 1
	s_wait_alu 0xfffe
	s_cmp_lg_u32 s22, 0x2710
	s_cselect_b32 s23, -1, 0
	s_wait_alu 0xfffe
	s_and_b32 vcc_lo, exec_lo, s23
	s_wait_alu 0xfffe
	s_cbranch_vccz .LBB2_475
; %bb.474:                              ;   in Loop: Header=BB2_473 Depth=4
	s_mov_b32 s25, -1
	s_or_b32 s21, s21, exec_lo
	s_and_saveexec_b32 s24, s23
	s_cbranch_execz .LBB2_472
	s_branch .LBB2_476
.LBB2_475:                              ;   in Loop: Header=BB2_473 Depth=4
	s_trap 2
	ds_load_b64 v[9:10], v0
	s_and_not1_b32 s23, s23, exec_lo
	s_mov_b32 s22, 0
	s_wait_storecnt 0x0
	s_wait_loadcnt_dscnt 0x0
	flat_load_b32 v3, v[9:10] scope:SCOPE_SYS
	s_wait_loadcnt_dscnt 0x0
	global_inv scope:SCOPE_SYS
	v_cmp_eq_u32_e32 vcc_lo, 0, v3
	s_and_b32 s24, vcc_lo, exec_lo
	s_wait_alu 0xfffe
	s_or_b32 s23, s23, s24
	s_mov_b32 s25, -1
	s_or_b32 s21, s21, exec_lo
	s_wait_alu 0xfffe
	s_and_saveexec_b32 s24, s23
	s_cbranch_execz .LBB2_472
.LBB2_476:                              ;   in Loop: Header=BB2_473 Depth=4
	s_sleep 1
	s_trap 2
	ds_load_b64 v[9:10], v0
	s_wait_dscnt 0x0
	global_inv scope:SCOPE_SE
	s_wait_alu 0xfffe
	s_and_not1_b32 s21, s21, exec_lo
	v_cmp_ge_u64_e32 vcc_lo, v[9:10], v[12:13]
	s_or_not1_b32 s25, vcc_lo, exec_lo
	s_branch .LBB2_472
.LBB2_477:                              ;   in Loop: Header=BB2_420 Depth=3
	s_wait_alu 0xfffe
	s_and_not1_saveexec_b32 s16, s13
	s_cbranch_execnz .LBB2_485
	s_branch .LBB2_488
.LBB2_478:                              ;   in Loop: Header=BB2_420 Depth=3
	s_or_b32 exec_lo, exec_lo, s19
	s_wait_alu 0xfffe
	s_and_saveexec_b32 s19, s20
	s_wait_alu 0xfffe
	s_xor_b32 s19, exec_lo, s19
	s_cbranch_execz .LBB2_480
; %bb.479:                              ;   in Loop: Header=BB2_420 Depth=3
	ds_store_b32 v0, v84
	s_trap 2
.LBB2_480:                              ;   in Loop: Header=BB2_420 Depth=3
	s_wait_alu 0xfffe
	s_or_b32 exec_lo, exec_lo, s18
	;;#ASMSTART
	s_wakeup
	;;#ASMEND
.LBB2_481:                              ;   in Loop: Header=BB2_420 Depth=3
	s_wait_alu 0xfffe
	s_or_b32 exec_lo, exec_lo, s17
.LBB2_482:                              ;   in Loop: Header=BB2_420 Depth=3
	s_wait_alu 0xfffe
	s_and_not1_saveexec_b32 s16, s16
	s_cbranch_execz .LBB2_484
; %bb.483:                              ;   in Loop: Header=BB2_420 Depth=3
	;;#ASMSTART
	s_waitcnt lgkmcnt(0) vmcnt(0)
	;;#ASMEND
	s_barrier_signal -1
	s_barrier_wait -1
.LBB2_484:                              ;   in Loop: Header=BB2_420 Depth=3
	s_wait_alu 0xfffe
	s_or_b32 exec_lo, exec_lo, s16
	v_and_b32_e32 v3, 16, v70
	s_and_not1_saveexec_b32 s16, s13
	s_cbranch_execz .LBB2_488
.LBB2_485:                              ;   in Loop: Header=BB2_420 Depth=3
	s_trap 2
	ds_load_b32 v3, v0
	v_cmp_lt_i32_e32 vcc_lo, 0, v8
	s_wait_dscnt 0x0
	v_readfirstlane_b32 s13, v3
	v_and_b32_e32 v3, 16, v70
	s_cmp_eq_u32 s13, 0
	s_delay_alu instid0(VALU_DEP_1)
	v_cmp_ne_u32_e64 s13, 0, v3
	s_cselect_b32 s17, -1, 0
	v_and_b32_e32 v3, 16, v70
	s_wait_alu 0xfffe
	s_and_b32 s17, vcc_lo, s17
	s_wait_alu 0xfffe
	s_and_b32 s17, s13, s17
	s_wait_alu 0xfffe
	s_and_saveexec_b32 s13, s17
	s_cbranch_execz .LBB2_487
; %bb.486:                              ;   in Loop: Header=BB2_420 Depth=3
	v_mov_b32_e32 v3, 1
	global_wb scope:SCOPE_SYS
	s_wait_loadcnt 0x0
	s_wait_storecnt 0x0
	global_inv scope:SCOPE_SYS
.LBB2_487:                              ;   in Loop: Header=BB2_420 Depth=3
	s_wait_alu 0xfffe
	s_or_b32 exec_lo, exec_lo, s13
.LBB2_488:                              ;   in Loop: Header=BB2_420 Depth=3
	s_wait_alu 0xfffe
	s_or_b32 exec_lo, exec_lo, s16
	v_cmp_ne_u32_e32 vcc_lo, 0, v3
	s_xor_b32 s13, s4, -1
	s_wait_alu 0xfffe
	s_and_b32 s16, vcc_lo, s13
	s_wait_alu 0xfffe
	s_and_saveexec_b32 s13, s16
	s_cbranch_execz .LBB2_490
; %bb.489:                              ;   in Loop: Header=BB2_420 Depth=3
	global_wb scope:SCOPE_SYS
	s_wait_storecnt 0x0
	s_wait_loadcnt_dscnt 0x0
	flat_store_b32 v[24:25], v84 scope:SCOPE_SYS
.LBB2_490:                              ;   in Loop: Header=BB2_420 Depth=3
	s_wait_alu 0xfffe
	s_or_b32 exec_lo, exec_lo, s13
	v_and_b32_e32 v3, 48, v70
	s_mov_b32 s13, exec_lo
	s_delay_alu instid0(VALU_DEP_1)
	v_cmpx_ne_u32_e32 0, v3
	s_cbranch_execz .LBB2_419
; %bb.491:                              ;   in Loop: Header=BB2_420 Depth=3
	v_add_co_u32 v38, vcc_lo, v38, 2
	s_wait_alu 0xfffd
	v_add_co_ci_u32_e64 v39, null, 0, v39, vcc_lo
	global_wb scope:SCOPE_SYS
	s_wait_storecnt 0x0
	s_wait_loadcnt_dscnt 0x0
	flat_store_b64 v[20:21], v[38:39] scope:SCOPE_SYS
	s_branch .LBB2_419
.LBB2_492:                              ;   in Loop: Header=BB2_47 Depth=1
	v_mul_lo_u32 v3, v37, s40
	v_mul_lo_u32 v10, v36, s41
	v_mad_co_u64_u32 v[8:9], null, v36, s40, 0
	v_mov_b32_e32 v55, 0
	s_delay_alu instid0(VALU_DEP_2) | instskip(NEXT) | instid1(VALU_DEP_3)
	v_add3_u32 v9, v9, v10, v3
	v_sub_co_u32 v10, vcc_lo, v48, v8
	s_wait_alu 0xfffd
	s_delay_alu instid0(VALU_DEP_2) | instskip(NEXT) | instid1(VALU_DEP_1)
	v_sub_co_ci_u32_e64 v11, null, v49, v9, vcc_lo
	v_cmp_lt_i64_e32 vcc_lo, v[36:37], v[10:11]
	s_wait_alu 0xfffd
	v_cndmask_b32_e32 v11, v10, v36, vcc_lo
	s_delay_alu instid0(VALU_DEP_1) | instskip(NEXT) | instid1(VALU_DEP_1)
	v_max_i32_e32 v3, 0, v11
	v_add_nc_u32_e32 v10, 31, v3
	v_cmp_lt_i32_e32 vcc_lo, 0, v11
	s_delay_alu instid0(VALU_DEP_2) | instskip(SKIP_1) | instid1(VALU_DEP_1)
	v_lshrrev_b32_e32 v10, 1, v10
	s_and_b32 s13, s74, vcc_lo
	v_and_b32_e32 v50, 0x3ffffff0, v10
	v_mov_b32_e32 v10, 0
	s_delay_alu instid0(VALU_DEP_2)
	v_max_i32_e32 v50, s62, v50
	s_wait_alu 0xfffe
	s_and_saveexec_b32 s42, s13
	s_cbranch_execz .LBB2_675
; %bb.493:                              ;   in Loop: Header=BB2_47 Depth=1
	v_add_co_u32 v128, vcc_lo, v8, v118
	s_wait_alu 0xfffd
	v_add_co_ci_u32_e64 v129, null, v9, v119, vcc_lo
	v_mov_b32_e32 v55, 0
	s_mov_b32 s88, 1
	s_mov_b32 s79, -1
	s_mov_b32 s47, 0
	s_branch .LBB2_495
.LBB2_494:                              ;   in Loop: Header=BB2_495 Depth=2
	s_wait_alu 0xfffe
	s_or_b32 exec_lo, exec_lo, s13
	v_dual_mov_b32 v10, s88 :: v_dual_add_nc_u32 v55, v50, v55
	s_xor_b32 s13, s79, -1
	s_mov_b32 s79, 0
	s_mov_b32 s88, 2
	s_delay_alu instid0(VALU_DEP_1)
	v_cmp_ge_i32_e32 vcc_lo, v55, v3
	s_wait_alu 0xfffe
	s_or_b32 s13, s13, vcc_lo
	s_wait_alu 0xfffe
	s_and_b32 s13, exec_lo, s13
	s_wait_alu 0xfffe
	s_or_b32 s47, s13, s47
	s_wait_alu 0xfffe
	s_and_not1_b32 exec_lo, exec_lo, s47
	s_cbranch_execz .LBB2_674
.LBB2_495:                              ;   Parent Loop BB2_47 Depth=1
                                        ; =>  This Loop Header: Depth=2
                                        ;       Child Loop BB2_503 Depth 3
                                        ;       Child Loop BB2_531 Depth 3
	;; [unrolled: 1-line block ×4, first 2 shown]
                                        ;         Child Loop BB2_574 Depth 4
                                        ;       Child Loop BB2_580 Depth 3
                                        ;         Child Loop BB2_581 Depth 4
                                        ;       Child Loop BB2_590 Depth 3
                                        ;       Child Loop BB2_595 Depth 3
                                        ;         Child Loop BB2_596 Depth 4
                                        ;       Child Loop BB2_608 Depth 3
                                        ;       Child Loop BB2_613 Depth 3
	;; [unrolled: 1-line block ×6, first 2 shown]
	s_and_saveexec_b32 s14, s0
	s_cbranch_execz .LBB2_497
; %bb.496:                              ;   in Loop: Header=BB2_495 Depth=2
	s_trap 2
	ds_load_2addr_b64 v[8:11], v0 offset1:1
	ds_load_b64 v[51:52], v0
	v_ashrrev_i32_e32 v53, 31, v55
	s_wait_dscnt 0x1
	v_add_co_u32 v8, vcc_lo, v8, v128
	s_wait_alu 0xfffd
	v_add_co_ci_u32_e64 v9, null, v9, v129, vcc_lo
	v_add_co_u32 v10, vcc_lo, v10, v128
	s_wait_alu 0xfffd
	v_add_co_ci_u32_e64 v11, null, v11, v129, vcc_lo
	s_wait_dscnt 0x0
	v_add_co_u32 v54, vcc_lo, v51, v128
	s_wait_alu 0xfffd
	v_add_co_ci_u32_e64 v64, null, v52, v129, vcc_lo
	v_add_co_u32 v8, vcc_lo, v8, v55
	s_wait_alu 0xfffd
	v_add_co_ci_u32_e64 v9, null, v9, v53, vcc_lo
	;; [unrolled: 3-line block ×3, first 2 shown]
	v_cmp_ne_u64_e32 vcc_lo, 0, v[51:52]
	v_add_co_u32 v10, s13, v10, v55
	s_wait_alu 0xf1ff
	v_add_co_ci_u32_e64 v11, null, v11, v53, s13
	s_wait_alu 0xfffd
	v_dual_cndmask_b32 v52, 0, v64 :: v_dual_cndmask_b32 v51, 0, v54
	ds_store_b64 v0, v[8:9]
	ds_store_b64 v0, v[10:11]
	;; [unrolled: 1-line block ×3, first 2 shown]
.LBB2_497:                              ;   in Loop: Header=BB2_495 Depth=2
	s_wait_alu 0xfffe
	s_or_b32 exec_lo, exec_lo, s14
	v_sub_nc_u32_e32 v8, v3, v55
	v_and_b32_e32 v9, 12, v70
	s_mov_b32 s14, exec_lo
	s_delay_alu instid0(VALU_DEP_2) | instskip(NEXT) | instid1(VALU_DEP_2)
	v_min_i32_e32 v50, v50, v8
	v_cmpx_ne_u32_e32 0, v9
	s_cbranch_execz .LBB2_523
; %bb.498:                              ;   in Loop: Header=BB2_495 Depth=2
	v_and_b32_e32 v53, 8, v70
	s_mov_b32 s15, exec_lo
	s_delay_alu instid0(VALU_DEP_1)
	v_add_co_u32 v10, vcc_lo, v26, v53
	s_wait_alu 0xfffd
	v_add_co_ci_u32_e64 v11, null, 0, v27, vcc_lo
	v_add_co_u32 v8, vcc_lo, v38, 2
	s_wait_alu 0xfffd
	v_add_co_ci_u32_e64 v9, null, 0, v39, vcc_lo
	s_delay_alu instid0(VALU_DEP_1)
	v_cmpx_lt_u64_e64 v[10:11], v[8:9]
	s_cbranch_execz .LBB2_510
; %bb.499:                              ;   in Loop: Header=BB2_495 Depth=2
	v_and_b32_e32 v10, 64, v70
	s_mov_b32 s16, 0
	s_mov_b32 s20, 0
                                        ; implicit-def: $sgpr17
                                        ; implicit-def: $sgpr18
                                        ; implicit-def: $sgpr19
	s_delay_alu instid0(VALU_DEP_1)
	v_cmp_eq_u32_e32 vcc_lo, 0, v10
	s_branch .LBB2_503
.LBB2_500:                              ;   in Loop: Header=BB2_503 Depth=3
	v_add_co_u32 v51, s13, v26, v53
	s_wait_alu 0xf1ff
	v_add_co_ci_u32_e64 v52, null, 0, v27, s13
	s_or_b32 s23, s23, exec_lo
	v_cmp_ge_u64_e64 s13, v[51:52], v[8:9]
	s_or_not1_b32 s22, s13, exec_lo
.LBB2_501:                              ;   in Loop: Header=BB2_503 Depth=3
	s_wait_alu 0xfffe
	s_or_b32 exec_lo, exec_lo, s25
	s_delay_alu instid0(SALU_CYCLE_1)
	s_and_not1_b32 s13, s19, exec_lo
	s_and_b32 s19, s23, exec_lo
	s_and_not1_b32 s18, s18, exec_lo
	s_and_b32 s22, s22, exec_lo
	s_wait_alu 0xfffe
	s_or_b32 s19, s13, s19
	s_or_b32 s18, s18, s22
.LBB2_502:                              ;   in Loop: Header=BB2_503 Depth=3
	s_wait_alu 0xfffe
	s_or_b32 exec_lo, exec_lo, s21
	s_delay_alu instid0(SALU_CYCLE_1)
	s_and_b32 s13, exec_lo, s18
	s_wait_alu 0xfffe
	s_or_b32 s16, s13, s16
	s_and_not1_b32 s13, s17, exec_lo
	s_and_b32 s17, s19, exec_lo
	s_wait_alu 0xfffe
	s_or_b32 s17, s13, s17
	s_and_not1_b32 exec_lo, exec_lo, s16
	s_cbranch_execz .LBB2_507
.LBB2_503:                              ;   Parent Loop BB2_47 Depth=1
                                        ;     Parent Loop BB2_495 Depth=2
                                        ; =>    This Inner Loop Header: Depth=3
	s_sleep 1
	flat_load_b64 v[26:27], v[20:21] scope:SCOPE_SYS
	s_wait_loadcnt_dscnt 0x0
	global_inv scope:SCOPE_SYS
	s_or_b32 s19, s19, exec_lo
	s_or_b32 s18, s18, exec_lo
                                        ; implicit-def: $vgpr10
	s_and_saveexec_b32 s21, vcc_lo
	s_cbranch_execz .LBB2_502
; %bb.504:                              ;   in Loop: Header=BB2_503 Depth=3
	s_wait_alu 0xfffe
	s_cmp_lt_i32 s20, 0x270f
	s_mov_b32 s22, -1
	s_cselect_b32 s24, -1, 0
	s_cmp_gt_i32 s20, 0x270e
	s_cbranch_scc0 .LBB2_506
; %bb.505:                              ;   in Loop: Header=BB2_503 Depth=3
	s_trap 2
	ds_load_b64 v[10:11], v0
	s_wait_alu 0xfffe
	s_and_not1_b32 s20, s24, exec_lo
	s_mov_b32 s23, 0
	s_wait_storecnt 0x0
	s_wait_loadcnt_dscnt 0x0
	flat_load_b32 v10, v[10:11] scope:SCOPE_SYS
	s_wait_loadcnt_dscnt 0x0
	global_inv scope:SCOPE_SYS
	v_cmp_eq_u32_e64 s13, 0, v10
	s_and_b32 s13, s13, exec_lo
	s_wait_alu 0xfffe
	s_or_b32 s24, s20, s13
	s_mov_b32 s20, 0
	s_wait_alu 0xfffe
	s_and_saveexec_b32 s25, s24
	s_cbranch_execz .LBB2_501
	s_branch .LBB2_500
.LBB2_506:                              ;   in Loop: Header=BB2_503 Depth=3
	s_add_co_i32 s20, s20, 1
	s_mov_b32 s23, -1
                                        ; implicit-def: $vgpr10
	s_wait_alu 0xfffe
	s_and_saveexec_b32 s25, s24
	s_cbranch_execz .LBB2_501
	s_branch .LBB2_500
.LBB2_507:                              ;   in Loop: Header=BB2_495 Depth=2
	s_or_b32 exec_lo, exec_lo, s16
	s_wait_alu 0xfffe
	s_xor_b32 s13, s17, -1
	s_wait_alu 0xfffe
	s_and_saveexec_b32 s16, s13
	s_wait_alu 0xfffe
	s_xor_b32 s13, exec_lo, s16
	s_cbranch_execz .LBB2_509
; %bb.508:                              ;   in Loop: Header=BB2_495 Depth=2
	v_or_b32_e32 v70, 64, v70
	s_wait_loadcnt 0x0
	s_wait_storecnt 0x0
	ds_store_b32 v0, v10
	s_trap 2
.LBB2_509:                              ;   in Loop: Header=BB2_495 Depth=2
	s_wait_alu 0xfffe
	s_or_b32 exec_lo, exec_lo, s13
.LBB2_510:                              ;   in Loop: Header=BB2_495 Depth=2
	s_wait_alu 0xfffe
	s_or_b32 exec_lo, exec_lo, s15
	v_and_b32_e32 v10, 0x108, v70
	;;#ASMSTART
	s_wakeup
	;;#ASMEND
	s_delay_alu instid0(VALU_DEP_1)
	v_cmp_ne_u32_e32 vcc_lo, 0x108, v10
                                        ; implicit-def: $vgpr10_vgpr11
	s_and_saveexec_b32 s13, vcc_lo
	s_wait_alu 0xfffe
	s_xor_b32 s13, exec_lo, s13
; %bb.511:                              ;   in Loop: Header=BB2_495 Depth=2
	v_dual_mov_b32 v11, v2 :: v_dual_and_b32 v10, 7, v38
                                        ; implicit-def: $vgpr38_vgpr39
; %bb.512:                              ;   in Loop: Header=BB2_495 Depth=2
	s_wait_alu 0xfffe
	s_and_not1_saveexec_b32 s13, s13
	s_cbranch_execz .LBB2_514
; %bb.513:                              ;   in Loop: Header=BB2_495 Depth=2
	v_dual_mov_b32 v11, v2 :: v_dual_and_b32 v10, 7, v38
	v_ashrrev_i32_e32 v51, 31, v50
	s_delay_alu instid0(VALU_DEP_2)
	v_mad_co_u64_u32 v[38:39], null, v10, 24, v[6:7]
	flat_store_b64 v[38:39], v[50:51] offset:8
.LBB2_514:                              ;   in Loop: Header=BB2_495 Depth=2
	s_wait_alu 0xfffe
	s_or_b32 exec_lo, exec_lo, s13
	v_and_b32_e32 v38, 0x100, v70
	s_mov_b32 s13, -1
	s_delay_alu instid0(VALU_DEP_1)
	v_cmp_ne_u32_e32 vcc_lo, 0, v38
                                        ; implicit-def: $vgpr38_vgpr39
	s_and_saveexec_b32 s15, vcc_lo
	s_cbranch_execz .LBB2_518
; %bb.515:                              ;   in Loop: Header=BB2_495 Depth=2
	v_mad_co_u64_u32 v[51:52], null, v10, 24, v[6:7]
	s_delay_alu instid0(VALU_DEP_1) | instskip(NEXT) | instid1(VALU_DEP_1)
	v_mov_b32_e32 v38, v52
	v_mad_co_u64_u32 v[38:39], null, v11, 24, v[38:39]
	s_delay_alu instid0(VALU_DEP_1)
	v_mov_b32_e32 v52, v38
	flat_load_b32 v38, v[51:52]
	s_wait_loadcnt_dscnt 0x0
	v_cmp_eq_u32_e64 s13, 1, v38
	v_cmp_ne_u32_e32 vcc_lo, 1, v38
                                        ; implicit-def: $vgpr38_vgpr39
	s_wait_alu 0xfffe
	s_and_saveexec_b32 s16, s13
	s_cbranch_execz .LBB2_517
; %bb.516:                              ;   in Loop: Header=BB2_495 Depth=2
	flat_load_b32 v38, v[51:52] offset:4 scope:SCOPE_SYS
	s_wait_loadcnt_dscnt 0x0
	v_ashrrev_i32_e32 v39, 31, v38
.LBB2_517:                              ;   in Loop: Header=BB2_495 Depth=2
	s_wait_alu 0xfffe
	s_or_b32 exec_lo, exec_lo, s16
	s_delay_alu instid0(SALU_CYCLE_1)
	s_or_not1_b32 s13, vcc_lo, exec_lo
.LBB2_518:                              ;   in Loop: Header=BB2_495 Depth=2
	s_wait_alu 0xfffe
	s_or_b32 exec_lo, exec_lo, s15
	s_and_saveexec_b32 s15, s13
; %bb.519:                              ;   in Loop: Header=BB2_495 Depth=2
	v_mul_lo_u32 v11, v11, v71
	v_mul_lo_u32 v51, v10, v80
	v_mad_co_u64_u32 v[38:39], null, v10, v71, 0
	s_delay_alu instid0(VALU_DEP_1)
	v_add3_u32 v39, v39, v51, v11
; %bb.520:                              ;   in Loop: Header=BB2_495 Depth=2
	s_wait_alu 0xfffe
	s_or_b32 exec_lo, exec_lo, s15
	v_cmp_eq_u32_e32 vcc_lo, 0, v53
	v_and_b32_e32 v52, 0x2000, v70
	s_mov_b32 s13, exec_lo
	s_wait_alu 0xfffd
	v_cndmask_b32_e32 v51, 0xd0, v85, vcc_lo
	v_add_co_u32 v10, vcc_lo, v22, v38
	s_wait_alu 0xfffd
	v_add_co_ci_u32_e64 v11, null, v23, v39, vcc_lo
	s_delay_alu instid0(VALU_DEP_3)
	v_add_nc_u32_e32 v38, v0, v51
	ds_store_b64 v38, v[10:11] offset:584
	v_cmpx_ne_u32_e32 0, v52
	s_cbranch_execz .LBB2_522
; %bb.521:                              ;   in Loop: Header=BB2_495 Depth=2
	ds_load_b64 v[10:11], v0 offset:872
	s_wait_dscnt 0x0
	v_add_co_u32 v10, vcc_lo, v10, 1
	s_wait_alu 0xfffd
	v_add_co_ci_u32_e64 v11, null, 0, v11, vcc_lo
	ds_store_b64 v0, v[10:11] offset:872
.LBB2_522:                              ;   in Loop: Header=BB2_495 Depth=2
	s_wait_alu 0xfffe
	s_or_b32 exec_lo, exec_lo, s13
	v_dual_mov_b32 v39, v9 :: v_dual_mov_b32 v38, v8
.LBB2_523:                              ;   in Loop: Header=BB2_495 Depth=2
	s_wait_alu 0xfffe
	s_or_b32 exec_lo, exec_lo, s14
	s_and_saveexec_b32 s13, s2
	s_cbranch_execz .LBB2_542
; %bb.524:                              ;   in Loop: Header=BB2_495 Depth=2
	s_and_saveexec_b32 s14, s3
	s_wait_alu 0xfffe
	s_xor_b32 s14, exec_lo, s14
	s_cbranch_execz .LBB2_539
; %bb.525:                              ;   in Loop: Header=BB2_495 Depth=2
	s_and_saveexec_b32 s15, s6
	s_cbranch_execz .LBB2_538
; %bb.526:                              ;   in Loop: Header=BB2_495 Depth=2
	s_mov_b32 s17, exec_lo
	s_mov_b32 s16, exec_lo
	s_wait_alu 0xfffe
	v_mbcnt_lo_u32_b32 v8, s17, 0
	s_wait_storecnt 0x0
	s_wait_loadcnt_dscnt 0x0
	global_inv scope:SCOPE_DEV
	v_cmpx_eq_u32_e32 0, v8
	s_cbranch_execz .LBB2_528
; %bb.527:                              ;   in Loop: Header=BB2_495 Depth=2
	s_bcnt1_i32_b32 s17, s17
	s_wait_alu 0xfffe
	v_dual_mov_b32 v9, v2 :: v_dual_mov_b32 v8, s17
	s_wait_loadcnt 0x0
	ds_add_u64 v0, v[8:9]
	s_trap 2
.LBB2_528:                              ;   in Loop: Header=BB2_495 Depth=2
	s_or_b32 exec_lo, exec_lo, s16
	s_trap 2
	ds_load_b64 v[8:9], v0
	s_wait_dscnt 0x0
	global_inv scope:SCOPE_SE
	v_add_co_u32 v12, vcc_lo, v12, v81
	s_wait_alu 0xfffd
	v_add_co_ci_u32_e64 v13, null, 0, v13, vcc_lo
	s_mov_b32 s16, exec_lo
	v_cmpx_lt_u64_e64 v[8:9], v[12:13]
	s_cbranch_execz .LBB2_537
; %bb.529:                              ;   in Loop: Header=BB2_495 Depth=2
	s_mov_b32 s17, 0
	s_mov_b32 s20, 0
                                        ; implicit-def: $sgpr18
                                        ; implicit-def: $sgpr19
	s_branch .LBB2_531
.LBB2_530:                              ;   in Loop: Header=BB2_531 Depth=3
	s_wait_alu 0xfffe
	s_or_b32 exec_lo, exec_lo, s22
	s_delay_alu instid0(SALU_CYCLE_1)
	s_and_b32 s21, exec_lo, s23
	s_wait_alu 0xfffe
	s_or_b32 s17, s21, s17
	s_and_not1_b32 s18, s18, exec_lo
	s_and_b32 s21, s19, exec_lo
	s_wait_alu 0xfffe
	s_or_b32 s18, s18, s21
	s_and_not1_b32 exec_lo, exec_lo, s17
	s_cbranch_execz .LBB2_535
.LBB2_531:                              ;   Parent Loop BB2_47 Depth=1
                                        ;     Parent Loop BB2_495 Depth=2
                                        ; =>    This Inner Loop Header: Depth=3
	s_wait_alu 0xfffe
	s_add_co_i32 s20, s20, 1
	s_wait_alu 0xfffe
	s_cmp_lg_u32 s20, 0x2710
	s_cselect_b32 s21, -1, 0
	s_wait_alu 0xfffe
	s_and_b32 vcc_lo, exec_lo, s21
	s_wait_alu 0xfffe
	s_cbranch_vccz .LBB2_533
; %bb.532:                              ;   in Loop: Header=BB2_531 Depth=3
	s_mov_b32 s23, -1
	s_or_b32 s19, s19, exec_lo
	s_and_saveexec_b32 s22, s21
	s_cbranch_execz .LBB2_530
	s_branch .LBB2_534
.LBB2_533:                              ;   in Loop: Header=BB2_531 Depth=3
	s_trap 2
	ds_load_b64 v[8:9], v0
	s_and_not1_b32 s21, s21, exec_lo
	s_mov_b32 s20, 0
	s_wait_loadcnt_dscnt 0x0
	flat_load_b32 v8, v[8:9] scope:SCOPE_SYS
	s_wait_loadcnt_dscnt 0x0
	global_inv scope:SCOPE_SYS
	v_cmp_eq_u32_e32 vcc_lo, 0, v8
	s_and_b32 s22, vcc_lo, exec_lo
	s_wait_alu 0xfffe
	s_or_b32 s21, s21, s22
	s_mov_b32 s23, -1
	s_or_b32 s19, s19, exec_lo
	s_wait_alu 0xfffe
	s_and_saveexec_b32 s22, s21
	s_cbranch_execz .LBB2_530
.LBB2_534:                              ;   in Loop: Header=BB2_531 Depth=3
	s_sleep 1
	s_trap 2
	ds_load_b64 v[8:9], v0
	s_wait_dscnt 0x0
	global_inv scope:SCOPE_SE
	s_wait_alu 0xfffe
	s_and_not1_b32 s19, s19, exec_lo
	v_cmp_ge_u64_e32 vcc_lo, v[8:9], v[12:13]
	s_or_not1_b32 s23, vcc_lo, exec_lo
	s_branch .LBB2_530
.LBB2_535:                              ;   in Loop: Header=BB2_495 Depth=2
	s_or_b32 exec_lo, exec_lo, s17
	s_wait_alu 0xfffe
	s_and_saveexec_b32 s17, s18
	s_wait_alu 0xfffe
	s_xor_b32 s17, exec_lo, s17
	s_cbranch_execz .LBB2_537
; %bb.536:                              ;   in Loop: Header=BB2_495 Depth=2
	ds_store_b32 v0, v84
	s_trap 2
.LBB2_537:                              ;   in Loop: Header=BB2_495 Depth=2
	s_wait_alu 0xfffe
	s_or_b32 exec_lo, exec_lo, s16
	;;#ASMSTART
	s_wakeup
	;;#ASMEND
.LBB2_538:                              ;   in Loop: Header=BB2_495 Depth=2
	s_wait_alu 0xfffe
	s_or_b32 exec_lo, exec_lo, s15
.LBB2_539:                              ;   in Loop: Header=BB2_495 Depth=2
	s_wait_alu 0xfffe
	s_and_not1_saveexec_b32 s14, s14
	s_cbranch_execz .LBB2_541
; %bb.540:                              ;   in Loop: Header=BB2_495 Depth=2
	s_wait_storecnt 0x0
	s_wait_loadcnt_dscnt 0x0
	global_inv scope:SCOPE_DEV
	s_barrier_signal -1
	s_barrier_wait -1
.LBB2_541:                              ;   in Loop: Header=BB2_495 Depth=2
	s_wait_alu 0xfffe
	s_or_b32 exec_lo, exec_lo, s14
.LBB2_542:                              ;   in Loop: Header=BB2_495 Depth=2
	s_wait_alu 0xfffe
	s_or_b32 exec_lo, exec_lo, s13
	s_trap 2
	ds_load_b32 v8, v0
	v_and_b32_e32 v9, 0x4000, v70
	s_xor_b32 s13, s1, -1
	s_delay_alu instid0(VALU_DEP_1)
	v_cmp_ne_u32_e32 vcc_lo, 0, v9
	s_wait_alu 0xfffe
	s_and_b32 s14, s13, vcc_lo
	s_wait_alu 0xfffe
	s_and_saveexec_b32 s13, s14
	s_cbranch_execz .LBB2_561
; %bb.543:                              ;   in Loop: Header=BB2_495 Depth=2
	s_and_saveexec_b32 s14, s3
	s_wait_alu 0xfffe
	s_xor_b32 s14, exec_lo, s14
	s_cbranch_execz .LBB2_558
; %bb.544:                              ;   in Loop: Header=BB2_495 Depth=2
	s_and_saveexec_b32 s15, s6
	s_cbranch_execz .LBB2_557
; %bb.545:                              ;   in Loop: Header=BB2_495 Depth=2
	s_mov_b32 s17, exec_lo
	s_mov_b32 s16, exec_lo
	s_wait_alu 0xfffe
	v_mbcnt_lo_u32_b32 v9, s17, 0
	s_wait_storecnt 0x0
	s_wait_loadcnt_dscnt 0x0
	global_inv scope:SCOPE_DEV
	v_cmpx_eq_u32_e32 0, v9
	s_cbranch_execz .LBB2_547
; %bb.546:                              ;   in Loop: Header=BB2_495 Depth=2
	s_bcnt1_i32_b32 s17, s17
	s_wait_alu 0xfffe
	v_dual_mov_b32 v10, v2 :: v_dual_mov_b32 v9, s17
	s_wait_loadcnt 0x0
	ds_add_u64 v0, v[9:10]
	s_trap 2
.LBB2_547:                              ;   in Loop: Header=BB2_495 Depth=2
	s_or_b32 exec_lo, exec_lo, s16
	s_trap 2
	ds_load_b64 v[9:10], v0
	s_wait_dscnt 0x0
	global_inv scope:SCOPE_SE
	v_add_co_u32 v12, vcc_lo, v12, v81
	s_wait_alu 0xfffd
	v_add_co_ci_u32_e64 v13, null, 0, v13, vcc_lo
	s_mov_b32 s16, exec_lo
	v_cmpx_lt_u64_e64 v[9:10], v[12:13]
	s_cbranch_execz .LBB2_556
; %bb.548:                              ;   in Loop: Header=BB2_495 Depth=2
	s_mov_b32 s17, 0
	s_mov_b32 s20, 0
                                        ; implicit-def: $sgpr18
                                        ; implicit-def: $sgpr19
	s_branch .LBB2_550
.LBB2_549:                              ;   in Loop: Header=BB2_550 Depth=3
	s_wait_alu 0xfffe
	s_or_b32 exec_lo, exec_lo, s22
	s_delay_alu instid0(SALU_CYCLE_1)
	s_and_b32 s21, exec_lo, s23
	s_wait_alu 0xfffe
	s_or_b32 s17, s21, s17
	s_and_not1_b32 s18, s18, exec_lo
	s_and_b32 s21, s19, exec_lo
	s_wait_alu 0xfffe
	s_or_b32 s18, s18, s21
	s_and_not1_b32 exec_lo, exec_lo, s17
	s_cbranch_execz .LBB2_554
.LBB2_550:                              ;   Parent Loop BB2_47 Depth=1
                                        ;     Parent Loop BB2_495 Depth=2
                                        ; =>    This Inner Loop Header: Depth=3
	s_wait_alu 0xfffe
	s_add_co_i32 s20, s20, 1
	s_wait_alu 0xfffe
	s_cmp_lg_u32 s20, 0x2710
	s_cselect_b32 s21, -1, 0
	s_wait_alu 0xfffe
	s_and_b32 vcc_lo, exec_lo, s21
	s_wait_alu 0xfffe
	s_cbranch_vccz .LBB2_552
; %bb.551:                              ;   in Loop: Header=BB2_550 Depth=3
	s_mov_b32 s23, -1
	s_or_b32 s19, s19, exec_lo
	s_and_saveexec_b32 s22, s21
	s_cbranch_execz .LBB2_549
	s_branch .LBB2_553
.LBB2_552:                              ;   in Loop: Header=BB2_550 Depth=3
	s_trap 2
	ds_load_b64 v[9:10], v0
	s_and_not1_b32 s21, s21, exec_lo
	s_mov_b32 s20, 0
	s_wait_loadcnt_dscnt 0x0
	flat_load_b32 v9, v[9:10] scope:SCOPE_SYS
	s_wait_loadcnt_dscnt 0x0
	global_inv scope:SCOPE_SYS
	v_cmp_eq_u32_e32 vcc_lo, 0, v9
	s_and_b32 s22, vcc_lo, exec_lo
	s_wait_alu 0xfffe
	s_or_b32 s21, s21, s22
	s_mov_b32 s23, -1
	s_or_b32 s19, s19, exec_lo
	s_wait_alu 0xfffe
	s_and_saveexec_b32 s22, s21
	s_cbranch_execz .LBB2_549
.LBB2_553:                              ;   in Loop: Header=BB2_550 Depth=3
	s_sleep 1
	s_trap 2
	ds_load_b64 v[9:10], v0
	s_wait_dscnt 0x0
	global_inv scope:SCOPE_SE
	s_wait_alu 0xfffe
	s_and_not1_b32 s19, s19, exec_lo
	v_cmp_ge_u64_e32 vcc_lo, v[9:10], v[12:13]
	s_or_not1_b32 s23, vcc_lo, exec_lo
	s_branch .LBB2_549
.LBB2_554:                              ;   in Loop: Header=BB2_495 Depth=2
	s_or_b32 exec_lo, exec_lo, s17
	s_wait_alu 0xfffe
	s_and_saveexec_b32 s17, s18
	s_wait_alu 0xfffe
	s_xor_b32 s17, exec_lo, s17
	s_cbranch_execz .LBB2_556
; %bb.555:                              ;   in Loop: Header=BB2_495 Depth=2
	ds_store_b32 v0, v84
	s_trap 2
.LBB2_556:                              ;   in Loop: Header=BB2_495 Depth=2
	s_wait_alu 0xfffe
	s_or_b32 exec_lo, exec_lo, s16
	;;#ASMSTART
	s_wakeup
	;;#ASMEND
.LBB2_557:                              ;   in Loop: Header=BB2_495 Depth=2
	s_wait_alu 0xfffe
	s_or_b32 exec_lo, exec_lo, s15
.LBB2_558:                              ;   in Loop: Header=BB2_495 Depth=2
	s_wait_alu 0xfffe
	s_and_not1_saveexec_b32 s14, s14
	s_cbranch_execz .LBB2_560
; %bb.559:                              ;   in Loop: Header=BB2_495 Depth=2
	s_wait_storecnt 0x0
	s_wait_loadcnt_dscnt 0x0
	global_inv scope:SCOPE_DEV
	s_barrier_signal -1
	s_barrier_wait -1
.LBB2_560:                              ;   in Loop: Header=BB2_495 Depth=2
	s_wait_alu 0xfffe
	s_or_b32 exec_lo, exec_lo, s14
.LBB2_561:                              ;   in Loop: Header=BB2_495 Depth=2
	s_wait_alu 0xfffe
	s_or_b32 exec_lo, exec_lo, s13
	s_trap 2
	ds_load_b64 v[51:52], v0
	s_wait_dscnt 0x0
	v_cmp_eq_u64_e32 vcc_lo, 0, v[51:52]
	s_cbranch_vccnz .LBB2_570
; %bb.562:                              ;   in Loop: Header=BB2_495 Depth=2
	s_trap 2
	ds_load_b64 v[53:54], v0
	s_wait_dscnt 0x0
	v_cmp_eq_u64_e32 vcc_lo, 0, v[53:54]
	s_cbranch_vccnz .LBB2_570
; %bb.563:                              ;   in Loop: Header=BB2_495 Depth=2
	s_trap 2
	ds_load_b64 v[64:65], v0
	v_cmp_eq_u32_e64 s13, 0, v8
	s_wait_alu 0xf1ff
	s_delay_alu instid0(VALU_DEP_1)
	v_cndmask_b32_e64 v130, 0, v50, s13
	s_mov_b32 s13, -1
	s_wait_dscnt 0x0
	v_cmp_ne_u64_e32 vcc_lo, 0, v[64:65]
	s_cbranch_vccz .LBB2_599
; %bb.564:                              ;   in Loop: Header=BB2_495 Depth=2
	s_and_saveexec_b32 s14, s12
	s_cbranch_execz .LBB2_566
; %bb.565:                              ;   in Loop: Header=BB2_495 Depth=2
	ds_load_b32 v8, v0 offset:720
	s_wait_dscnt 0x0
	v_and_b32_e32 v8, 15, v8
	s_delay_alu instid0(VALU_DEP_1)
	v_cmp_eq_u32_e32 vcc_lo, 0, v8
	s_or_not1_b32 s13, vcc_lo, exec_lo
.LBB2_566:                              ;   in Loop: Header=BB2_495 Depth=2
	s_wait_alu 0xfffe
	s_or_b32 exec_lo, exec_lo, s14
	s_and_saveexec_b32 s14, s12
	s_cbranch_execz .LBB2_568
; %bb.567:                              ;   in Loop: Header=BB2_495 Depth=2
	ds_load_b32 v8, v0 offset:784
	s_wait_dscnt 0x0
	v_and_b32_e32 v8, 15, v8
	s_delay_alu instid0(VALU_DEP_1)
	v_cmp_eq_u32_e32 vcc_lo, 0, v8
	s_and_b32 s15, s13, vcc_lo
	s_and_not1_b32 s13, s13, exec_lo
	s_wait_alu 0xfffe
	s_and_b32 s15, s15, exec_lo
	s_wait_alu 0xfffe
	s_or_b32 s13, s13, s15
.LBB2_568:                              ;   in Loop: Header=BB2_495 Depth=2
	s_wait_alu 0xfffe
	s_or_b32 exec_lo, exec_lo, s14
	s_xor_b32 s13, s13, -1
	v_dual_mov_b32 v68, 0 :: v_dual_mov_b32 v69, v130
	s_wait_alu 0xfffe
	v_cndmask_b32_e64 v8, 0, 1, s13
	v_mov_b32_e32 v145, v0
	s_mov_b32 s14, -1
	s_delay_alu instid0(VALU_DEP_2)
	v_cmp_ne_u32_e32 vcc_lo, 0, v8
	v_mov_b32_e32 v8, v102
	s_cbranch_vccz .LBB2_571
; %bb.569:                              ;   in Loop: Header=BB2_495 Depth=2
	s_wait_alu 0xfffe
	s_and_saveexec_b32 s21, s14
	s_cbranch_execnz .LBB2_588
	s_branch .LBB2_598
.LBB2_570:                              ;   in Loop: Header=BB2_495 Depth=2
	s_mov_b32 s13, 0
	s_and_saveexec_b32 s14, s2
	s_cbranch_execnz .LBB2_629
	s_branch .LBB2_647
.LBB2_571:                              ;   in Loop: Header=BB2_495 Depth=2
	v_ashrrev_i32_e32 v8, 31, v130
	v_sub_nc_u32_e32 v132, v130, v83
	s_mov_b32 s18, exec_lo
	s_delay_alu instid0(VALU_DEP_2) | instskip(NEXT) | instid1(VALU_DEP_1)
	v_lshrrev_b32_e32 v8, 23, v8
	v_add_nc_u32_e32 v8, v130, v8
	s_delay_alu instid0(VALU_DEP_1) | instskip(SKIP_1) | instid1(VALU_DEP_2)
	v_and_b32_e32 v131, 0xfffffe00, v8
	v_ashrrev_i32_e32 v8, 9, v8
	v_sub_nc_u32_e32 v133, v130, v131
	s_delay_alu instid0(VALU_DEP_1) | instskip(SKIP_1) | instid1(VALU_DEP_1)
	v_cmp_lt_i32_e64 s13, 15, v133
	s_wait_alu 0xf1ff
	v_add_co_ci_u32_e64 v134, null, v8, v115, s13
	v_cmpx_lt_i32_e32 15, v132
	s_cbranch_execz .LBB2_577
; %bb.572:                              ;   in Loop: Header=BB2_495 Depth=2
	s_trap 2
	ds_load_b64 v[8:9], v0
	v_add_co_u32 v135, vcc_lo, v53, v83
	s_wait_alu 0xfffd
	v_add_co_ci_u32_e64 v144, null, v54, v98, vcc_lo
	v_add_co_u32 v145, vcc_lo, v64, v83
	s_wait_alu 0xfffd
	v_add_co_ci_u32_e64 v146, null, v65, v98, vcc_lo
	;; [unrolled: 3-line block ×3, first 2 shown]
	s_mov_b32 s19, 0
	s_wait_dscnt 0x0
	v_add_co_u32 v68, vcc_lo, v8, v83
	s_wait_alu 0xfffd
	v_add_co_ci_u32_e64 v69, null, v9, v98, vcc_lo
.LBB2_573:                              ;   Parent Loop BB2_47 Depth=1
                                        ;     Parent Loop BB2_495 Depth=2
                                        ; =>    This Loop Header: Depth=3
                                        ;         Child Loop BB2_574 Depth 4
	global_load_b128 v[8:11], v[68:69], off th:TH_LOAD_NT
	global_load_b128 v[147:150], v[66:67], off th:TH_LOAD_NT
	v_dual_mov_b32 v151, 0 :: v_dual_mov_b32 v160, 0
	v_dual_mov_b32 v161, 0 :: v_dual_mov_b32 v162, 0
	;; [unrolled: 1-line block ×8, first 2 shown]
	s_mov_b64 s[16:17], 0
	s_mov_b32 s20, -1
	s_wait_loadcnt 0x1
	v_lshrrev_b32_e32 v44, 24, v9
	s_wait_loadcnt 0x0
	v_lshrrev_b32_e32 v72, 24, v148
	v_bfe_u32 v60, v147, 8, 8
	v_lshrrev_b32_e32 v61, 24, v147
	v_bfe_u32 v40, v8, 8, 8
	v_cvt_f32_bf8_e32 v44, v44
	v_cvt_f32_bf8_e32 v72, v72
	v_and_b32_e32 v59, 0xff, v147
	v_bfe_u32 v147, v147, 16, 8
	v_lshrrev_b32_e32 v41, 24, v8
	v_bfe_u32 v43, v9, 8, 8
	v_bfe_u32 v63, v148, 8, 8
	v_cvt_f32_bf8_e32 v40, v40
	v_cvt_f32_bf8_e32 v147, v147
	v_and_b32_e32 v183, 0xff, v8
	v_bfe_u32 v8, v8, 16, 8
	v_cvt_f32_bf8_e32 v43, v43
	v_cvt_f32_bf8_e32 v60, v60
	v_and_b32_e32 v45, 0xff, v10
	v_cvt_f32_bf8_e32 v63, v63
	v_and_b32_e32 v73, 0xff, v149
	v_cvt_f32_bf8_e32 v8, v8
	v_bfe_u32 v46, v10, 8, 8
	v_lshrrev_b32_e32 v47, 24, v10
	v_bfe_u32 v10, v10, 16, 8
	v_bfe_u32 v74, v149, 8, 8
	v_lshrrev_b32_e32 v75, 24, v149
	v_bfe_u32 v149, v149, 16, 8
	v_cvt_f32_bf8_e32 v59, v59
	v_cvt_f32_bf8_e32 v73, v73
	v_mul_f32_e32 v40, v40, v60
	v_cvt_f32_bf8_e32 v45, v45
	v_and_b32_e32 v62, 0xff, v148
	v_bfe_u32 v148, v148, 16, 8
	v_mul_f32_e32 v8, v8, v147
	v_cvt_f32_bf8_e32 v183, v183
	v_and_b32_e32 v42, 0xff, v9
	v_bfe_u32 v9, v9, 16, 8
	v_bfe_u32 v57, v11, 8, 8
	;; [unrolled: 1-line block ×3, first 2 shown]
	v_cvt_f32_bf8_e32 v41, v41
	v_cvt_f32_bf8_e32 v46, v46
	;; [unrolled: 1-line block ×6, first 2 shown]
	v_and_b32_e32 v56, 0xff, v11
	v_cvt_f32_bf8_e32 v148, v148
	v_and_b32_e32 v76, 0xff, v150
	v_cvt_f32_bf8_e32 v74, v74
	v_cvt_f32_bf8_e32 v149, v149
	;; [unrolled: 1-line block ×3, first 2 shown]
	v_mul_f32_e32 v183, v183, v59
	v_lshrrev_b32_e32 v58, 24, v11
	v_bfe_u32 v11, v11, 16, 8
	v_lshrrev_b32_e32 v78, 24, v150
	v_bfe_u32 v150, v150, 16, 8
	v_cvt_f32_bf8_e32 v42, v42
	v_cvt_f32_bf8_e32 v57, v57
	;; [unrolled: 1-line block ×4, first 2 shown]
	v_mul_f32_e32 v147, v41, v61
	v_cvt_f32_bf8_e32 v56, v56
	v_mul_f32_e32 v9, v9, v148
	v_cvt_f32_bf8_e32 v76, v76
	v_mul_f32_e32 v148, v44, v72
	v_mul_f32_e32 v44, v46, v74
	v_dual_mul_f32 v10, v10, v149 :: v_dual_mul_f32 v149, v47, v75
	v_med3_num_f32 v47, v183, s59, 0xc7600000
	v_cmp_nlg_f32_e64 vcc_lo, 0x7f800000, |v183|
	v_cvt_f32_bf8_e32 v11, v11
	v_cvt_f32_bf8_e32 v150, v150
	v_dual_mul_f32 v41, v42, v62 :: v_dual_mul_f32 v46, v57, v77
	v_dual_mul_f32 v42, v43, v63 :: v_dual_mul_f32 v43, v45, v73
	v_mul_f32_e32 v45, v56, v76
	v_med3_num_f32 v56, v40, s59, 0xc7600000
	v_med3_num_f32 v57, v8, s59, 0xc7600000
	s_wait_alu 0xfffd
	v_cndmask_b32_e32 v183, v47, v183, vcc_lo
	v_cmp_nlg_f32_e64 vcc_lo, 0x7f800000, |v40|
	v_cvt_f32_bf8_e32 v58, v58
	v_cvt_f32_bf8_e32 v78, v78
	v_mul_f32_e32 v11, v11, v150
	v_med3_num_f32 v59, v41, s59, 0xc7600000
	s_wait_alu 0xfffd
	v_cndmask_b32_e32 v40, v56, v40, vcc_lo
	v_cmp_nlg_f32_e64 vcc_lo, 0x7f800000, |v8|
	v_mul_f32_e32 v150, v58, v78
	v_med3_num_f32 v58, v147, s59, 0xc7600000
	v_med3_num_f32 v60, v42, s59, 0xc7600000
	v_med3_num_f32 v61, v9, s59, 0xc7600000
	s_wait_alu 0xfffd
	v_cndmask_b32_e32 v8, v57, v8, vcc_lo
	v_cmp_nlg_f32_e64 vcc_lo, 0x7f800000, |v147|
	v_med3_num_f32 v62, v148, s59, 0xc7600000
	v_med3_num_f32 v63, v43, s59, 0xc7600000
	v_med3_num_f32 v72, v44, s59, 0xc7600000
	v_med3_num_f32 v73, v10, s59, 0xc7600000
	s_wait_alu 0xfffd
	v_cndmask_b32_e32 v147, v58, v147, vcc_lo
	v_cmp_nlg_f32_e64 vcc_lo, 0x7f800000, |v41|
	v_med3_num_f32 v74, v149, s59, 0xc7600000
	;; [unrolled: 7-line block ×3, first 2 shown]
	v_cvt_pk_bf8_f32 v160, v40, v40
	v_cvt_pk_bf8_f32 v161, v8, v8
	;; [unrolled: 1-line block ×3, first 2 shown]
	s_wait_alu 0xfffd
	v_cndmask_b32_e32 v42, v60, v42, vcc_lo
	v_cmp_nlg_f32_e64 vcc_lo, 0x7f800000, |v9|
	v_cvt_pk_bf8_f32 v162, v147, v147
	v_cvt_pk_bf8_f32 v163, v41, v41
	v_lshlrev_b32_e32 v8, 8, v160
	v_cvt_pk_bf8_f32 v164, v42, v42
	s_wait_alu 0xfffd
	v_cndmask_b32_e32 v9, v61, v9, vcc_lo
	v_cmp_nlg_f32_e64 vcc_lo, 0x7f800000, |v148|
	v_perm_b32 v8, v8, v151, 0xc0c0500
	s_wait_alu 0xfffd
	v_cndmask_b32_e32 v148, v62, v148, vcc_lo
	v_cmp_nlg_f32_e64 vcc_lo, 0x7f800000, |v43|
	v_cvt_pk_bf8_f32 v165, v9, v9
	v_and_b32_e32 v9, 0xff, v161
	s_delay_alu instid0(VALU_DEP_4)
	v_cvt_pk_bf8_f32 v166, v148, v148
	s_wait_alu 0xfffd
	v_cndmask_b32_e32 v43, v63, v43, vcc_lo
	v_cmp_nlg_f32_e64 vcc_lo, 0x7f800000, |v44|
	v_and_b32_e32 v147, 0xff, v165
	v_lshlrev_b32_e32 v9, 16, v9
	v_lshlrev_b32_e32 v148, 24, v166
	s_wait_alu 0xfffd
	v_cndmask_b32_e32 v44, v72, v44, vcc_lo
	v_cmp_nlg_f32_e64 vcc_lo, 0x7f800000, |v10|
	v_cvt_pk_bf8_f32 v167, v43, v43
	v_lshlrev_b32_e32 v147, 16, v147
	s_delay_alu instid0(VALU_DEP_4)
	v_cvt_pk_bf8_f32 v176, v44, v44
	s_wait_alu 0xfffd
	v_cndmask_b32_e32 v10, v73, v10, vcc_lo
	v_cmp_nlg_f32_e64 vcc_lo, 0x7f800000, |v149|
	s_wait_alu 0xfffd
	v_cndmask_b32_e32 v149, v74, v149, vcc_lo
	v_cmp_nlg_f32_e64 vcc_lo, 0x7f800000, |v45|
	v_cvt_pk_bf8_f32 v177, v10, v10
	v_lshlrev_b32_e32 v10, 24, v162
	s_delay_alu instid0(VALU_DEP_4)
	v_cvt_pk_bf8_f32 v178, v149, v149
	s_wait_alu 0xfffd
	v_cndmask_b32_e32 v45, v75, v45, vcc_lo
	v_cmp_nlg_f32_e64 vcc_lo, 0x7f800000, |v46|
	v_lshlrev_b32_e32 v149, 8, v176
	v_or3_b32 v8, v10, v9, v8
	v_lshlrev_b32_e32 v160, 24, v178
	s_wait_alu 0xfffd
	v_cndmask_b32_e32 v46, v76, v46, vcc_lo
	v_cmp_nlg_f32_e64 vcc_lo, 0x7f800000, |v11|
	v_cvt_pk_bf8_f32 v179, v45, v45
	v_perm_b32 v149, v149, v167, 0xc0c0500
	s_delay_alu instid0(VALU_DEP_4)
	v_cvt_pk_bf8_f32 v180, v46, v46
	s_wait_alu 0xfffd
	v_cndmask_b32_e32 v11, v77, v11, vcc_lo
	v_cmp_nlg_f32_e64 vcc_lo, 0x7f800000, |v150|
	s_wait_alu 0xfffd
	v_dual_cndmask_b32 v150, v78, v150 :: v_dual_lshlrev_b32 v161, 8, v180
	s_delay_alu instid0(VALU_DEP_3) | instskip(SKIP_1) | instid1(VALU_DEP_3)
	v_cvt_pk_bf8_f32 v181, v11, v11
	v_lshlrev_b32_e32 v11, 8, v164
	v_perm_b32 v161, v161, v179, 0xc0c0500
	s_delay_alu instid0(VALU_DEP_4) | instskip(SKIP_3) | instid1(VALU_DEP_4)
	v_cvt_pk_bf8_f32 v182, v150, v150
	v_and_b32_e32 v150, 0xff, v177
	v_and_b32_e32 v162, 0xff, v181
	v_perm_b32 v11, v11, v163, 0xc0c0500
	v_lshlrev_b32_e32 v164, 24, v182
	s_delay_alu instid0(VALU_DEP_4) | instskip(NEXT) | instid1(VALU_DEP_4)
	v_lshlrev_b32_e32 v150, 16, v150
	v_lshlrev_b32_e32 v151, 16, v162
	s_delay_alu instid0(VALU_DEP_4) | instskip(NEXT) | instid1(VALU_DEP_3)
	v_or3_b32 v9, v148, v147, v11
	v_or3_b32 v10, v160, v150, v149
	s_delay_alu instid0(VALU_DEP_3)
	v_or3_b32 v11, v164, v151, v161
.LBB2_574:                              ;   Parent Loop BB2_47 Depth=1
                                        ;     Parent Loop BB2_495 Depth=2
                                        ;       Parent Loop BB2_573 Depth=3
                                        ; =>      This Inner Loop Header: Depth=4
	s_wait_alu 0xfffe
	s_cmp_eq_u32 s16, 1
	s_cselect_b32 vcc_lo, -1, 0
	s_cmp_eq_u32 s16, 0
	s_wait_alu 0xfffe
	v_dual_cndmask_b32 v148, v144, v146 :: v_dual_cndmask_b32 v147, v135, v145
	s_mov_b64 s[16:17], 1
	s_delay_alu instid0(VALU_DEP_1) | instskip(SKIP_1) | instid1(VALU_DEP_2)
	v_add_co_u32 v149, s14, 0x200, v147
	s_wait_alu 0xf1ff
	v_add_co_ci_u32_e64 v150, null, 0, v148, s14
	s_cselect_b32 s14, -1, 0
	s_and_b32 s15, exec_lo, s20
	v_dual_cndmask_b32 v145, v145, v149 :: v_dual_cndmask_b32 v146, v146, v150
	s_wait_alu 0xfffe
	v_cndmask_b32_e64 v144, v144, v150, s14
	v_cndmask_b32_e64 v135, v135, v149, s14
	s_mov_b32 s20, 0
	s_mov_b32 vcc_lo, s15
	global_store_b128 v[147:148], v[8:11], off th:TH_STORE_NT
	s_wait_alu 0xfffe
	s_cbranch_vccnz .LBB2_574
; %bb.575:                              ;   in Loop: Header=BB2_573 Depth=3
	v_add_co_u32 v66, vcc_lo, v66, v116
	v_sub_nc_u32_e32 v132, v132, v96
	s_wait_alu 0xfffd
	v_add_co_ci_u32_e64 v67, null, v67, v117, vcc_lo
	v_add_co_u32 v68, vcc_lo, v68, v116
	s_wait_alu 0xfffd
	v_add_co_ci_u32_e64 v69, null, v69, v117, vcc_lo
	v_add_co_u32 v135, vcc_lo, v135, v100
	s_wait_alu 0xfffd
	v_add_co_ci_u32_e64 v144, null, v144, v103, vcc_lo
	v_cmp_gt_i32_e32 vcc_lo, 16, v132
	v_add_co_u32 v145, s14, v145, v100
	s_wait_alu 0xf1ff
	v_add_co_ci_u32_e64 v146, null, v146, v103, s14
	v_sub_nc_u32_e32 v134, v134, v81
	s_or_b32 s19, vcc_lo, s19
	s_wait_alu 0xfffe
	s_and_not1_b32 exec_lo, exec_lo, s19
	s_cbranch_execnz .LBB2_573
; %bb.576:                              ;   in Loop: Header=BB2_495 Depth=2
	s_or_b32 exec_lo, exec_lo, s19
.LBB2_577:                              ;   in Loop: Header=BB2_495 Depth=2
	s_wait_alu 0xfffe
	s_or_b32 exec_lo, exec_lo, s18
	v_dual_mov_b32 v68, 0 :: v_dual_and_b32 v9, 15, v130
	s_mov_b32 s14, 0
	s_mov_b32 s18, exec_lo
                                        ; implicit-def: $vgpr69
                                        ; implicit-def: $vgpr145
                                        ; implicit-def: $vgpr8
	s_delay_alu instid0(VALU_DEP_1) | instskip(NEXT) | instid1(VALU_DEP_1)
	v_cndmask_b32_e64 v132, v133, v9, s13
	v_cmpx_ne_u32_e32 0, v132
	s_cbranch_execz .LBB2_587
; %bb.578:                              ;   in Loop: Header=BB2_495 Depth=2
	v_cmp_lt_i32_e32 vcc_lo, 0, v134
	v_ashrrev_i32_e32 v11, 31, v132
	v_sub_nc_u32_e32 v9, v133, v9
	s_mov_b32 s19, exec_lo
	s_delay_alu instid0(VALU_DEP_2) | instskip(SKIP_3) | instid1(VALU_DEP_3)
	v_lshrrev_b32_e32 v11, 23, v11
	s_wait_alu 0xfffd
	v_cndmask_b32_e32 v8, 0, v81, vcc_lo
	v_cndmask_b32_e64 v9, 0, v9, s13
	v_add_nc_u32_e32 v11, v132, v11
	s_delay_alu instid0(VALU_DEP_3) | instskip(NEXT) | instid1(VALU_DEP_3)
	v_sub_nc_u32_e32 v8, v8, v134
	v_add_nc_u32_e32 v131, v9, v131
	s_delay_alu instid0(VALU_DEP_3) | instskip(NEXT) | instid1(VALU_DEP_3)
	v_and_b32_e32 v134, 0xfffffe00, v11
	v_lshl_add_u32 v8, v8, 5, v114
	v_ashrrev_i32_e32 v11, 9, v11
	s_delay_alu instid0(VALU_DEP_3) | instskip(NEXT) | instid1(VALU_DEP_3)
	v_sub_nc_u32_e32 v133, v132, v134
	v_ashrrev_i32_e32 v10, 31, v8
	s_delay_alu instid0(VALU_DEP_2) | instskip(NEXT) | instid1(VALU_DEP_2)
	v_cmp_lt_i32_e64 s13, 15, v133
	v_lshrrev_b32_e32 v10, 27, v10
	s_wait_alu 0xf1ff
	s_delay_alu instid0(VALU_DEP_2) | instskip(NEXT) | instid1(VALU_DEP_2)
	v_add_co_ci_u32_e64 v11, null, 0, v11, s13
	v_add_nc_u32_e32 v10, v8, v10
	s_delay_alu instid0(VALU_DEP_1) | instskip(SKIP_1) | instid1(VALU_DEP_2)
	v_and_b32_e32 v66, 0xffffffe0, v10
	v_ashrrev_i32_e32 v10, 5, v10
	v_sub_nc_u32_e32 v135, v8, v66
	s_delay_alu instid0(VALU_DEP_2) | instskip(NEXT) | instid1(VALU_DEP_2)
	v_sub_nc_u32_e32 v144, v11, v10
	v_lshlrev_b32_e32 v8, 4, v135
	s_delay_alu instid0(VALU_DEP_1) | instskip(NEXT) | instid1(VALU_DEP_1)
	v_lshl_add_u32 v8, v10, 9, v8
	v_sub_nc_u32_e32 v145, v132, v8
	s_delay_alu instid0(VALU_DEP_1)
	v_cmpx_lt_i32_e32 15, v145
	s_cbranch_execz .LBB2_584
; %bb.579:                              ;   in Loop: Header=BB2_495 Depth=2
	s_trap 2
	ds_load_b64 v[9:10], v0
	v_add_nc_u32_e32 v8, v8, v131
	s_mov_b32 s20, 0
	s_delay_alu instid0(VALU_DEP_1) | instskip(SKIP_2) | instid1(VALU_DEP_2)
	v_ashrrev_i32_e32 v11, 31, v8
	v_add_co_u32 v146, vcc_lo, v8, v53
	s_wait_alu 0xfffd
	v_add_co_ci_u32_e64 v147, null, v11, v54, vcc_lo
	v_add_co_u32 v148, vcc_lo, v8, v64
	s_wait_alu 0xfffd
	v_add_co_ci_u32_e64 v149, null, v11, v65, vcc_lo
	;; [unrolled: 3-line block ×3, first 2 shown]
	s_wait_dscnt 0x0
	v_add_co_u32 v68, vcc_lo, v9, v8
	s_wait_alu 0xfffd
	v_add_co_ci_u32_e64 v69, null, v10, v11, vcc_lo
.LBB2_580:                              ;   Parent Loop BB2_47 Depth=1
                                        ;     Parent Loop BB2_495 Depth=2
                                        ; =>    This Loop Header: Depth=3
                                        ;         Child Loop BB2_581 Depth 4
	global_load_b128 v[8:11], v[68:69], off th:TH_LOAD_NT
	global_load_b128 v[160:163], v[66:67], off th:TH_LOAD_NT
	v_dual_mov_b32 v150, 0 :: v_dual_mov_b32 v151, 0
	v_dual_mov_b32 v164, 0 :: v_dual_mov_b32 v165, 0
	;; [unrolled: 1-line block ×8, first 2 shown]
	s_mov_b64 s[16:17], 0
	s_mov_b32 s21, -1
	s_wait_loadcnt 0x1
	v_bfe_u32 v43, v8, 8, 8
	v_bfe_u32 v46, v9, 8, 8
	s_wait_loadcnt 0x0
	v_bfe_u32 v63, v160, 8, 8
	v_bfe_u32 v74, v161, 8, 8
	v_lshrrev_b32_e32 v44, 24, v8
	v_lshrrev_b32_e32 v72, 24, v160
	v_cvt_f32_bf8_e32 v43, v43
	v_cvt_f32_bf8_e32 v46, v46
	;; [unrolled: 1-line block ×3, first 2 shown]
	v_and_b32_e32 v42, 0xff, v8
	v_cvt_f32_bf8_e32 v74, v74
	v_and_b32_e32 v62, 0xff, v160
	v_bfe_u32 v8, v8, 16, 8
	v_lshrrev_b32_e32 v47, 24, v9
	v_bfe_u32 v160, v160, 16, 8
	v_lshrrev_b32_e32 v75, 24, v161
	v_cvt_f32_bf8_e32 v44, v44
	v_cvt_f32_bf8_e32 v62, v62
	;; [unrolled: 1-line block ×3, first 2 shown]
	v_and_b32_e32 v73, 0xff, v161
	v_bfe_u32 v161, v161, 16, 8
	v_mul_f32_e32 v43, v43, v63
	v_cvt_f32_bf8_e32 v42, v42
	v_and_b32_e32 v45, 0xff, v9
	v_bfe_u32 v9, v9, 16, 8
	v_bfe_u32 v57, v10, 8, 8
	v_lshrrev_b32_e32 v58, 24, v10
	v_bfe_u32 v77, v162, 8, 8
	v_lshrrev_b32_e32 v78, 24, v162
	v_cvt_f32_bf8_e32 v8, v8
	v_cvt_f32_bf8_e32 v9, v9
	;; [unrolled: 1-line block ×5, first 2 shown]
	v_and_b32_e32 v56, 0xff, v10
	v_bfe_u32 v10, v10, 16, 8
	v_cvt_f32_bf8_e32 v75, v75
	v_and_b32_e32 v76, 0xff, v162
	v_bfe_u32 v162, v162, 16, 8
	v_dual_mul_f32 v8, v8, v160 :: v_dual_and_b32 v59, 0xff, v11
	v_bfe_u32 v60, v11, 8, 8
	v_lshrrev_b32_e32 v61, 24, v11
	v_bfe_u32 v11, v11, 16, 8
	v_bfe_u32 v88, v163, 8, 8
	v_lshrrev_b32_e32 v89, 24, v163
	v_cvt_f32_bf8_e32 v10, v10
	v_cvt_f32_bf8_e32 v58, v58
	;; [unrolled: 1-line block ×4, first 2 shown]
	v_mul_f32_e32 v42, v42, v62
	v_cvt_f32_bf8_e32 v45, v45
	v_mul_f32_e32 v160, v44, v72
	v_cvt_f32_bf8_e32 v73, v73
	v_and_b32_e32 v79, 0xff, v163
	v_bfe_u32 v163, v163, 16, 8
	v_cvt_f32_bf8_e32 v59, v59
	v_cvt_f32_bf8_e32 v60, v60
	;; [unrolled: 1-line block ×5, first 2 shown]
	v_mul_f32_e32 v44, v45, v73
	v_cvt_f32_bf8_e32 v79, v79
	v_mul_f32_e32 v9, v9, v161
	v_cvt_f32_bf8_e32 v56, v56
	;; [unrolled: 2-line block ×3, first 2 shown]
	v_mul_f32_e32 v10, v10, v162
	v_dual_mul_f32 v162, v58, v78 :: v_dual_mul_f32 v11, v11, v163
	v_med3_num_f32 v58, v42, s59, 0xc7600000
	v_cmp_nlg_f32_e64 vcc_lo, 0x7f800000, |v42|
	v_cvt_f32_bf8_e32 v57, v57
	v_cvt_f32_bf8_e32 v61, v61
	;; [unrolled: 1-line block ×4, first 2 shown]
	v_dual_mul_f32 v45, v46, v74 :: v_dual_mul_f32 v46, v56, v76
	v_mul_f32_e32 v56, v59, v79
	v_med3_num_f32 v59, v43, s59, 0xc7600000
	s_wait_alu 0xfffd
	v_cndmask_b32_e32 v42, v58, v42, vcc_lo
	v_cmp_nlg_f32_e64 vcc_lo, 0x7f800000, |v43|
	v_mul_f32_e32 v47, v57, v77
	v_mul_f32_e32 v57, v60, v88
	v_med3_num_f32 v60, v8, s59, 0xc7600000
	v_mul_f32_e32 v163, v61, v89
	s_wait_alu 0xfffd
	v_cndmask_b32_e32 v43, v59, v43, vcc_lo
	v_cmp_nlg_f32_e64 vcc_lo, 0x7f800000, |v8|
	v_med3_num_f32 v61, v160, s59, 0xc7600000
	v_med3_num_f32 v63, v45, s59, 0xc7600000
	v_med3_num_f32 v62, v44, s59, 0xc7600000
	v_med3_num_f32 v72, v9, s59, 0xc7600000
	s_wait_alu 0xfffd
	v_cndmask_b32_e32 v8, v60, v8, vcc_lo
	v_cmp_nlg_f32_e64 vcc_lo, 0x7f800000, |v160|
	v_med3_num_f32 v73, v161, s59, 0xc7600000
	v_med3_num_f32 v74, v46, s59, 0xc7600000
	v_med3_num_f32 v75, v47, s59, 0xc7600000
	v_med3_num_f32 v76, v10, s59, 0xc7600000
	;; [unrolled: 7-line block ×3, first 2 shown]
	s_wait_alu 0xfffd
	v_cndmask_b32_e32 v44, v62, v44, vcc_lo
	v_cmp_nlg_f32_e64 vcc_lo, 0x7f800000, |v45|
	v_med3_num_f32 v89, v163, s59, 0xc7600000
	v_cvt_pk_bf8_f32 v151, v43, v43
	v_cvt_pk_bf8_f32 v150, v42, v42
	s_wait_alu 0xfffd
	v_cndmask_b32_e32 v45, v63, v45, vcc_lo
	v_cmp_nlg_f32_e64 vcc_lo, 0x7f800000, |v9|
	v_cvt_pk_bf8_f32 v164, v8, v8
	v_lshlrev_b32_e32 v8, 8, v151
	s_delay_alu instid0(VALU_DEP_4)
	v_cvt_pk_bf8_f32 v167, v45, v45
	s_wait_alu 0xfffd
	v_cndmask_b32_e32 v9, v72, v9, vcc_lo
	v_cmp_nlg_f32_e64 vcc_lo, 0x7f800000, |v161|
	v_cvt_pk_bf8_f32 v165, v160, v160
	v_perm_b32 v8, v8, v150, 0xc0c0500
	s_delay_alu instid0(VALU_DEP_4)
	v_cvt_pk_bf8_f32 v176, v9, v9
	s_wait_alu 0xfffd
	v_cndmask_b32_e32 v161, v73, v161, vcc_lo
	v_cmp_nlg_f32_e64 vcc_lo, 0x7f800000, |v46|
	v_cvt_pk_bf8_f32 v166, v44, v44
	v_and_b32_e32 v9, 0xff, v164
	v_and_b32_e32 v151, 0xff, v176
	v_cvt_pk_bf8_f32 v177, v161, v161
	s_wait_alu 0xfffd
	v_cndmask_b32_e32 v46, v74, v46, vcc_lo
	v_cmp_nlg_f32_e64 vcc_lo, 0x7f800000, |v47|
	v_lshlrev_b32_e32 v9, 16, v9
	v_lshlrev_b32_e32 v150, 16, v151
	s_wait_alu 0xfffd
	v_dual_cndmask_b32 v47, v75, v47 :: v_dual_lshlrev_b32 v160, 24, v177
	v_cmp_nlg_f32_e64 vcc_lo, 0x7f800000, |v10|
	v_cvt_pk_bf8_f32 v178, v46, v46
	s_delay_alu instid0(VALU_DEP_3)
	v_cvt_pk_bf8_f32 v179, v47, v47
	s_wait_alu 0xfffd
	v_cndmask_b32_e32 v10, v76, v10, vcc_lo
	v_cmp_nlg_f32_e64 vcc_lo, 0x7f800000, |v162|
	s_wait_alu 0xfffd
	v_dual_cndmask_b32 v162, v77, v162 :: v_dual_lshlrev_b32 v161, 8, v179
	v_cmp_nlg_f32_e64 vcc_lo, 0x7f800000, |v56|
	s_delay_alu instid0(VALU_DEP_2)
	v_perm_b32 v161, v161, v178, 0xc0c0500
	s_wait_alu 0xfffd
	v_cndmask_b32_e32 v56, v78, v56, vcc_lo
	v_cmp_nlg_f32_e64 vcc_lo, 0x7f800000, |v57|
	s_wait_alu 0xfffd
	v_cndmask_b32_e32 v57, v79, v57, vcc_lo
	v_cmp_nlg_f32_e64 vcc_lo, 0x7f800000, |v11|
	v_cvt_pk_bf8_f32 v180, v10, v10
	v_lshlrev_b32_e32 v10, 24, v165
	s_delay_alu instid0(VALU_DEP_4)
	v_cvt_pk_bf8_f32 v183, v57, v57
	s_wait_alu 0xfffd
	v_cndmask_b32_e32 v11, v88, v11, vcc_lo
	v_cmp_nlg_f32_e64 vcc_lo, 0x7f800000, |v163|
	v_cvt_pk_bf8_f32 v181, v162, v162
	v_and_b32_e32 v162, 0xff, v180
	v_lshlrev_b32_e32 v164, 8, v183
	v_cvt_pk_bf8_f32 v40, v11, v11
	s_wait_alu 0xfffd
	v_cndmask_b32_e32 v163, v89, v163, vcc_lo
	v_cvt_pk_bf8_f32 v182, v56, v56
	v_lshlrev_b32_e32 v11, 8, v167
	v_lshlrev_b32_e32 v151, 16, v162
	v_and_b32_e32 v165, 0xff, v40
	v_cvt_pk_bf8_f32 v41, v163, v163
	v_lshlrev_b32_e32 v163, 24, v181
	v_perm_b32 v11, v11, v166, 0xc0c0500
	v_perm_b32 v164, v164, v182, 0xc0c0500
	v_lshlrev_b32_e32 v162, 16, v165
	v_lshlrev_b32_e32 v167, 24, v41
	v_or3_b32 v8, v10, v9, v8
	v_or3_b32 v9, v160, v150, v11
	;; [unrolled: 1-line block ×3, first 2 shown]
	s_delay_alu instid0(VALU_DEP_4)
	v_or3_b32 v11, v167, v162, v164
.LBB2_581:                              ;   Parent Loop BB2_47 Depth=1
                                        ;     Parent Loop BB2_495 Depth=2
                                        ;       Parent Loop BB2_580 Depth=3
                                        ; =>      This Inner Loop Header: Depth=4
	s_wait_alu 0xfffe
	s_cmp_eq_u32 s16, 1
	s_cselect_b32 vcc_lo, -1, 0
	s_cmp_eq_u32 s16, 0
	s_wait_alu 0xfffe
	v_dual_cndmask_b32 v151, v147, v149 :: v_dual_cndmask_b32 v150, v146, v148
	s_mov_b64 s[16:17], 1
	s_delay_alu instid0(VALU_DEP_1) | instskip(SKIP_1) | instid1(VALU_DEP_2)
	v_add_co_u32 v160, s14, 0x200, v150
	s_wait_alu 0xf1ff
	v_add_co_ci_u32_e64 v161, null, 0, v151, s14
	s_cselect_b32 s14, -1, 0
	s_and_b32 s15, exec_lo, s21
	v_dual_cndmask_b32 v148, v148, v160 :: v_dual_cndmask_b32 v149, v149, v161
	s_wait_alu 0xfffe
	v_cndmask_b32_e64 v147, v147, v161, s14
	v_cndmask_b32_e64 v146, v146, v160, s14
	s_mov_b32 s21, 0
	s_mov_b32 vcc_lo, s15
	global_store_b128 v[150:151], v[8:11], off th:TH_STORE_NT
	s_wait_alu 0xfffe
	s_cbranch_vccnz .LBB2_581
; %bb.582:                              ;   in Loop: Header=BB2_580 Depth=3
	v_add_co_u32 v66, vcc_lo, v66, v116
	v_sub_nc_u32_e32 v145, v145, v96
	s_wait_alu 0xfffd
	v_add_co_ci_u32_e64 v67, null, v67, v117, vcc_lo
	v_add_co_u32 v68, vcc_lo, v68, v116
	s_wait_alu 0xfffd
	v_add_co_ci_u32_e64 v69, null, v69, v117, vcc_lo
	v_add_co_u32 v146, vcc_lo, v146, v100
	s_wait_alu 0xfffd
	v_add_co_ci_u32_e64 v147, null, v147, v103, vcc_lo
	v_cmp_gt_i32_e32 vcc_lo, 16, v145
	v_add_co_u32 v148, s14, v148, v100
	s_wait_alu 0xf1ff
	v_add_co_ci_u32_e64 v149, null, v149, v103, s14
	v_sub_nc_u32_e32 v144, v144, v81
	s_or_b32 s20, vcc_lo, s20
	s_wait_alu 0xfffe
	s_and_not1_b32 exec_lo, exec_lo, s20
	s_cbranch_execnz .LBB2_580
; %bb.583:                              ;   in Loop: Header=BB2_495 Depth=2
	s_or_b32 exec_lo, exec_lo, s20
.LBB2_584:                              ;   in Loop: Header=BB2_495 Depth=2
	s_wait_alu 0xfffe
	s_or_b32 exec_lo, exec_lo, s19
	v_dual_mov_b32 v68, 0 :: v_dual_and_b32 v9, 15, v132
	s_mov_b32 s14, 0
	s_mov_b32 s15, exec_lo
                                        ; implicit-def: $vgpr145
                                        ; implicit-def: $vgpr8
	s_delay_alu instid0(VALU_DEP_1) | instskip(NEXT) | instid1(VALU_DEP_1)
	v_cndmask_b32_e64 v69, v133, v9, s13
	v_cmpx_ne_u32_e32 0, v69
	s_cbranch_execz .LBB2_586
; %bb.585:                              ;   in Loop: Header=BB2_495 Depth=2
	v_cmp_lt_i32_e32 vcc_lo, 0, v144
	v_sub_nc_u32_e32 v9, v133, v9
	s_mov_b32 s14, exec_lo
	s_wait_alu 0xfffd
	v_cndmask_b32_e32 v8, 0, v81, vcc_lo
	s_delay_alu instid0(VALU_DEP_2) | instskip(NEXT) | instid1(VALU_DEP_2)
	v_cndmask_b32_e64 v9, 0, v9, s13
	v_sub_nc_u32_e32 v8, v8, v144
	s_delay_alu instid0(VALU_DEP_2) | instskip(NEXT) | instid1(VALU_DEP_2)
	v_add3_u32 v68, v134, v131, v9
	v_lshl_add_u32 v145, v8, 5, v135
	s_delay_alu instid0(VALU_DEP_1) | instskip(NEXT) | instid1(VALU_DEP_1)
	v_ashrrev_i32_e32 v8, 31, v145
	v_lshrrev_b32_e32 v8, 27, v8
	s_delay_alu instid0(VALU_DEP_1) | instskip(NEXT) | instid1(VALU_DEP_1)
	v_add_nc_u32_e32 v8, v145, v8
	v_ashrrev_i32_e32 v8, 5, v8
.LBB2_586:                              ;   in Loop: Header=BB2_495 Depth=2
	s_wait_alu 0xfffe
	s_or_b32 exec_lo, exec_lo, s15
	s_delay_alu instid0(SALU_CYCLE_1)
	s_and_b32 s14, s14, exec_lo
.LBB2_587:                              ;   in Loop: Header=BB2_495 Depth=2
	s_wait_alu 0xfffe
	s_or_b32 exec_lo, exec_lo, s18
	s_and_saveexec_b32 s21, s14
	s_cbranch_execz .LBB2_598
.LBB2_588:                              ;   in Loop: Header=BB2_495 Depth=2
	v_ashrrev_i32_e32 v9, 31, v69
	s_mov_b32 s22, exec_lo
	s_delay_alu instid0(VALU_DEP_1) | instskip(NEXT) | instid1(VALU_DEP_1)
	v_lshrrev_b32_e32 v9, 24, v9
	v_add_nc_u32_e32 v9, v69, v9
	s_delay_alu instid0(VALU_DEP_1) | instskip(SKIP_1) | instid1(VALU_DEP_2)
	v_ashrrev_i32_e32 v133, 8, v9
	v_ashrrev_i32_e32 v9, 31, v145
	v_sub_nc_u32_e32 v131, v133, v8
	s_delay_alu instid0(VALU_DEP_2) | instskip(NEXT) | instid1(VALU_DEP_2)
	v_lshrrev_b32_e32 v132, 27, v9
	v_cmpx_lt_i32_e32 0, v131
	s_cbranch_execz .LBB2_592
; %bb.589:                              ;   in Loop: Header=BB2_495 Depth=2
	s_delay_alu instid0(VALU_DEP_2)
	v_add_nc_u32_e32 v9, v145, v132
	s_trap 2
	ds_load_b64 v[66:67], v0
	v_lshlrev_b32_e32 v8, 8, v8
	s_mov_b32 s23, 0
	v_and_b32_e32 v9, 0xffffffe0, v9
	s_delay_alu instid0(VALU_DEP_1) | instskip(NEXT) | instid1(VALU_DEP_1)
	v_sub_nc_u32_e32 v9, v145, v9
	v_add3_u32 v134, v68, v9, v8
	s_delay_alu instid0(VALU_DEP_1) | instskip(SKIP_2) | instid1(VALU_DEP_2)
	v_ashrrev_i32_e32 v135, 31, v134
	v_add_co_u32 v8, vcc_lo, v134, v53
	s_wait_alu 0xfffd
	v_add_co_ci_u32_e64 v9, null, v135, v54, vcc_lo
	v_add_co_u32 v10, vcc_lo, v134, v64
	s_wait_alu 0xfffd
	v_add_co_ci_u32_e64 v11, null, v135, v65, vcc_lo
	;; [unrolled: 3-line block ×3, first 2 shown]
	s_wait_dscnt 0x0
	v_add_co_u32 v66, vcc_lo, v66, v134
	s_wait_alu 0xfffd
	v_add_co_ci_u32_e64 v67, null, v67, v135, vcc_lo
.LBB2_590:                              ;   Parent Loop BB2_47 Depth=1
                                        ;     Parent Loop BB2_495 Depth=2
                                        ; =>    This Inner Loop Header: Depth=3
	flat_load_u8 v134, v[64:65] th:TH_LOAD_NT
	flat_load_u8 v135, v[66:67] th:TH_LOAD_NT
	flat_load_u8 v144, v[64:65] offset:32 th:TH_LOAD_NT
	flat_load_u8 v146, v[66:67] offset:32 th:TH_LOAD_NT
	;; [unrolled: 1-line block ×14, first 2 shown]
	v_dual_mov_b32 v167, 0 :: v_dual_mov_b32 v176, 0
	v_dual_mov_b32 v177, 0 :: v_dual_mov_b32 v178, 0
	;; [unrolled: 1-line block ×4, first 2 shown]
	v_sub_nc_u32_e32 v131, v131, v81
	v_add_co_u32 v64, vcc_lo, v64, v97
	s_wait_alu 0xfffd
	v_add_co_ci_u32_e64 v65, null, 0, v65, vcc_lo
	v_add_co_u32 v66, vcc_lo, v66, v97
	s_wait_alu 0xfffd
	v_add_co_ci_u32_e64 v67, null, 0, v67, vcc_lo
	v_cmp_gt_i32_e32 vcc_lo, 1, v131
	s_wait_alu 0xfffe
	s_or_b32 s23, vcc_lo, s23
	s_wait_loadcnt_dscnt 0xf0f
	v_cvt_f32_bf8_e32 v134, v134
	s_wait_loadcnt_dscnt 0xe0e
	v_cvt_f32_bf8_e32 v135, v135
	;; [unrolled: 2-line block ×16, first 2 shown]
	v_dual_mul_f32 v134, v134, v135 :: v_dual_mul_f32 v135, v144, v146
	v_mul_f32_e32 v144, v147, v148
	v_dual_mul_f32 v146, v149, v150 :: v_dual_mul_f32 v147, v151, v160
	v_dual_mul_f32 v148, v161, v162 :: v_dual_mul_f32 v149, v163, v164
	v_mul_f32_e32 v150, v165, v166
	v_med3_num_f32 v151, v134, s59, 0xc7600000
	v_cmp_nlg_f32_e64 s20, 0x7f800000, |v134|
	v_med3_num_f32 v160, v135, s59, 0xc7600000
	v_cmp_nlg_f32_e64 s13, 0x7f800000, |v135|
	;; [unrolled: 2-line block ×8, first 2 shown]
	s_wait_alu 0xf1ff
	v_cndmask_b32_e64 v134, v151, v134, s20
	v_cndmask_b32_e64 v135, v160, v135, s13
	;; [unrolled: 1-line block ×8, first 2 shown]
	v_cvt_pk_bf8_f32 v167, v134, v134
	v_cvt_pk_bf8_f32 v176, v135, v135
	;; [unrolled: 1-line block ×8, first 2 shown]
	s_clause 0x7
	flat_store_b8 v[8:9], v167 th:TH_STORE_NT
	flat_store_b8 v[8:9], v176 offset:32 th:TH_STORE_NT
	flat_store_b8 v[8:9], v177 offset:64 th:TH_STORE_NT
	;; [unrolled: 1-line block ×7, first 2 shown]
	s_clause 0x7
	flat_store_b8 v[10:11], v167 th:TH_STORE_NT
	flat_store_b8 v[10:11], v176 offset:32 th:TH_STORE_NT
	flat_store_b8 v[10:11], v177 offset:64 th:TH_STORE_NT
	;; [unrolled: 1-line block ×7, first 2 shown]
	v_add_co_u32 v8, s13, v8, v97
	s_wait_alu 0xf1ff
	v_add_co_ci_u32_e64 v9, null, 0, v9, s13
	v_add_co_u32 v10, s13, v10, v97
	s_wait_alu 0xf1ff
	v_add_co_ci_u32_e64 v11, null, 0, v11, s13
	s_wait_alu 0xfffe
	s_and_not1_b32 exec_lo, exec_lo, s23
	s_cbranch_execnz .LBB2_590
; %bb.591:                              ;   in Loop: Header=BB2_495 Depth=2
	s_or_b32 exec_lo, exec_lo, s23
.LBB2_592:                              ;   in Loop: Header=BB2_495 Depth=2
	s_wait_alu 0xfffe
	s_or_b32 exec_lo, exec_lo, s22
	v_lshlrev_b32_e32 v8, 8, v133
	s_delay_alu instid0(VALU_DEP_1)
	v_cmp_ne_u32_e32 vcc_lo, v69, v8
	s_and_b32 exec_lo, exec_lo, vcc_lo
	s_cbranch_execz .LBB2_598
; %bb.593:                              ;   in Loop: Header=BB2_495 Depth=2
	v_add_nc_u32_e32 v9, v145, v132
	v_lshlrev_b32_e32 v10, 5, v131
	s_delay_alu instid0(VALU_DEP_2) | instskip(NEXT) | instid1(VALU_DEP_1)
	v_and_b32_e32 v9, 0xffffffe0, v9
	v_sub_nc_u32_e32 v9, v145, v9
	s_delay_alu instid0(VALU_DEP_1) | instskip(NEXT) | instid1(VALU_DEP_1)
	v_sub_nc_u32_e32 v9, v9, v10
	v_add_nc_u32_e32 v8, v8, v9
	s_delay_alu instid0(VALU_DEP_1) | instskip(NEXT) | instid1(VALU_DEP_1)
	v_sub_nc_u32_e32 v69, v69, v8
	v_cmp_lt_i32_e32 vcc_lo, 0, v69
	s_and_b32 exec_lo, exec_lo, vcc_lo
	s_cbranch_execz .LBB2_598
; %bb.594:                              ;   in Loop: Header=BB2_495 Depth=2
	s_trap 2
	ds_load_b128 v[64:67], v0
	v_add_nc_u32_e32 v10, v8, v68
	s_mov_b32 s15, 0
	s_delay_alu instid0(VALU_DEP_1) | instskip(SKIP_3) | instid1(VALU_DEP_2)
	v_ashrrev_i32_e32 v11, 31, v10
	s_wait_dscnt 0x0
	v_add_co_u32 v8, vcc_lo, v64, v10
	s_wait_alu 0xfffd
	v_add_co_ci_u32_e64 v9, null, v65, v11, vcc_lo
	s_delay_alu instid0(VALU_DEP_1) | instskip(SKIP_3) | instid1(VALU_DEP_1)
	v_mov_b32_e32 v65, v9
	v_add_co_u32 v10, vcc_lo, v66, v10
	s_wait_alu 0xfffd
	v_add_co_ci_u32_e64 v11, null, v67, v11, vcc_lo
	v_dual_mov_b32 v64, v8 :: v_dual_mov_b32 v67, v11
	s_delay_alu instid0(VALU_DEP_3)
	v_mov_b32_e32 v66, v10
.LBB2_595:                              ;   Parent Loop BB2_47 Depth=1
                                        ;     Parent Loop BB2_495 Depth=2
                                        ; =>    This Loop Header: Depth=3
                                        ;         Child Loop BB2_596 Depth 4
	flat_load_u8 v68, v[66:67] th:TH_LOAD_NT
	flat_load_u8 v131, v[64:65] th:TH_LOAD_NT
	s_mov_b64 s[16:17], 0
	s_mov_b32 s18, -1
	s_wait_loadcnt_dscnt 0x101
	v_cvt_f32_bf8_e32 v68, v68
	s_wait_loadcnt_dscnt 0x0
	v_cvt_f32_bf8_e32 v131, v131
	s_delay_alu instid0(VALU_DEP_1) | instskip(NEXT) | instid1(VALU_DEP_1)
	v_mul_f32_e32 v68, v68, v131
	v_med3_num_f32 v131, v68, s59, 0xc7600000
	v_cmp_nlg_f32_e64 vcc_lo, 0x7f800000, |v68|
	s_wait_alu 0xfffd
	s_delay_alu instid0(VALU_DEP_2) | instskip(NEXT) | instid1(VALU_DEP_1)
	v_dual_cndmask_b32 v131, v131, v68 :: v_dual_mov_b32 v68, 0
	v_cvt_pk_bf8_f32 v68, v131, v131
.LBB2_596:                              ;   Parent Loop BB2_47 Depth=1
                                        ;     Parent Loop BB2_495 Depth=2
                                        ;       Parent Loop BB2_595 Depth=3
                                        ; =>      This Inner Loop Header: Depth=4
	s_wait_alu 0xfffe
	s_cmp_eq_u32 s16, 1
	s_cselect_b32 vcc_lo, -1, 0
	s_cmp_eq_u32 s16, 0
	s_wait_alu 0xfffe
	v_dual_cndmask_b32 v132, v9, v11 :: v_dual_cndmask_b32 v131, v8, v10
	s_mov_b64 s[16:17], 1
	s_delay_alu instid0(VALU_DEP_1) | instskip(SKIP_1) | instid1(VALU_DEP_2)
	v_add_co_u32 v133, s13, v131, 32
	s_wait_alu 0xf1ff
	v_add_co_ci_u32_e64 v134, null, 0, v132, s13
	s_cselect_b32 s13, -1, 0
	s_and_b32 s14, exec_lo, s18
	v_dual_cndmask_b32 v10, v10, v133 :: v_dual_cndmask_b32 v11, v11, v134
	s_wait_alu 0xfffe
	v_cndmask_b32_e64 v9, v9, v134, s13
	v_cndmask_b32_e64 v8, v8, v133, s13
	s_mov_b32 s18, 0
	s_mov_b32 vcc_lo, s14
	flat_store_b8 v[131:132], v68 th:TH_STORE_NT
	s_wait_alu 0xfffe
	s_cbranch_vccnz .LBB2_596
; %bb.597:                              ;   in Loop: Header=BB2_595 Depth=3
	v_add_co_u32 v64, vcc_lo, v64, v112
	v_sub_nc_u32_e32 v69, v69, v82
	s_wait_alu 0xfffd
	v_add_co_ci_u32_e64 v65, null, v65, v113, vcc_lo
	v_add_co_u32 v66, vcc_lo, v66, v112
	s_wait_alu 0xfffd
	v_add_co_ci_u32_e64 v67, null, v67, v113, vcc_lo
	v_add_co_u32 v8, vcc_lo, v8, v99
	s_wait_alu 0xfffd
	v_add_co_ci_u32_e64 v9, null, v9, v101, vcc_lo
	v_cmp_gt_i32_e32 vcc_lo, 1, v69
	v_add_co_u32 v10, s13, v10, v99
	s_wait_alu 0xf1ff
	v_add_co_ci_u32_e64 v11, null, v11, v101, s13
	s_or_b32 s15, vcc_lo, s15
	s_wait_alu 0xfffe
	s_and_not1_b32 exec_lo, exec_lo, s15
	s_cbranch_execnz .LBB2_595
.LBB2_598:                              ;   in Loop: Header=BB2_495 Depth=2
	s_wait_alu 0xfffe
	s_or_b32 exec_lo, exec_lo, s21
	s_mov_b32 s13, 0
.LBB2_599:                              ;   in Loop: Header=BB2_495 Depth=2
	s_wait_alu 0xfffe
	s_and_b32 vcc_lo, exec_lo, s13
	s_wait_alu 0xfffe
	s_cbranch_vccz .LBB2_628
; %bb.600:                              ;   in Loop: Header=BB2_495 Depth=2
	s_mov_b32 s13, -1
	s_and_saveexec_b32 s14, s12
	s_cbranch_execz .LBB2_602
; %bb.601:                              ;   in Loop: Header=BB2_495 Depth=2
	ds_load_b32 v8, v0 offset:720
	s_wait_dscnt 0x0
	v_and_b32_e32 v8, 15, v8
	s_delay_alu instid0(VALU_DEP_1)
	v_cmp_eq_u32_e32 vcc_lo, 0, v8
	s_or_not1_b32 s13, vcc_lo, exec_lo
.LBB2_602:                              ;   in Loop: Header=BB2_495 Depth=2
	s_wait_alu 0xfffe
	s_or_b32 exec_lo, exec_lo, s14
	s_and_saveexec_b32 s14, s10
	s_cbranch_execz .LBB2_604
; %bb.603:                              ;   in Loop: Header=BB2_495 Depth=2
	ds_load_b32 v8, v0 offset:784
	s_wait_dscnt 0x0
	v_and_b32_e32 v8, 15, v8
	s_delay_alu instid0(VALU_DEP_1)
	v_cmp_eq_u32_e32 vcc_lo, 0, v8
	s_and_b32 s15, s13, vcc_lo
	s_and_not1_b32 s13, s13, exec_lo
	s_wait_alu 0xfffe
	s_and_b32 s15, s15, exec_lo
	s_wait_alu 0xfffe
	s_or_b32 s13, s13, s15
.LBB2_604:                              ;   in Loop: Header=BB2_495 Depth=2
	s_wait_alu 0xfffe
	s_or_b32 exec_lo, exec_lo, s14
	s_xor_b32 s13, s13, -1
	v_dual_mov_b32 v64, 0 :: v_dual_mov_b32 v65, v130
	s_wait_alu 0xfffe
	v_cndmask_b32_e64 v8, 0, 1, s13
	v_mov_b32_e32 v133, v0
	s_mov_b32 s14, -1
	s_delay_alu instid0(VALU_DEP_2)
	v_cmp_ne_u32_e32 vcc_lo, 0, v8
	v_mov_b32_e32 v8, v102
	s_cbranch_vccz .LBB2_606
; %bb.605:                              ;   in Loop: Header=BB2_495 Depth=2
	s_wait_alu 0xfffe
	s_and_saveexec_b32 s21, s14
	s_cbranch_execnz .LBB2_619
	s_branch .LBB2_627
.LBB2_606:                              ;   in Loop: Header=BB2_495 Depth=2
	v_ashrrev_i32_e32 v8, 31, v130
	v_sub_nc_u32_e32 v67, v130, v83
	s_mov_b32 s89, exec_lo
	s_delay_alu instid0(VALU_DEP_2) | instskip(NEXT) | instid1(VALU_DEP_1)
	v_lshrrev_b32_e32 v8, 23, v8
	v_add_nc_u32_e32 v8, v130, v8
	s_delay_alu instid0(VALU_DEP_1) | instskip(SKIP_1) | instid1(VALU_DEP_2)
	v_and_b32_e32 v66, 0xfffffe00, v8
	v_ashrrev_i32_e32 v8, 9, v8
	v_sub_nc_u32_e32 v68, v130, v66
	s_delay_alu instid0(VALU_DEP_1) | instskip(SKIP_1) | instid1(VALU_DEP_3)
	v_cmp_lt_i32_e32 vcc_lo, 15, v68
	s_wait_alu 0xfffd
	v_add_co_ci_u32_e64 v69, null, v8, v115, vcc_lo
	v_cmpx_lt_i32_e32 15, v67
	s_cbranch_execz .LBB2_610
; %bb.607:                              ;   in Loop: Header=BB2_495 Depth=2
	s_trap 2
	ds_load_b64 v[10:11], v0
	v_add_co_u32 v8, s13, v51, v83
	s_wait_alu 0xf1ff
	v_add_co_ci_u32_e64 v9, null, v52, v98, s13
	s_mov_b32 s90, 0
	s_wait_dscnt 0x0
	v_add_co_u32 v10, s13, v10, v83
	s_wait_alu 0xf1ff
	v_add_co_ci_u32_e64 v11, null, v11, v98, s13
	v_add_co_u32 v64, s13, v53, v83
	s_wait_alu 0xf1ff
	v_add_co_ci_u32_e64 v65, null, v54, v98, s13
.LBB2_608:                              ;   Parent Loop BB2_47 Depth=1
                                        ;     Parent Loop BB2_495 Depth=2
                                        ; =>    This Inner Loop Header: Depth=3
	global_load_b128 v[131:134], v[10:11], off th:TH_LOAD_NT
	global_load_b128 v[144:147], v[8:9], off th:TH_LOAD_NT
	v_dual_mov_b32 v135, 0 :: v_dual_mov_b32 v148, 0
	v_dual_mov_b32 v149, 0 :: v_dual_mov_b32 v150, 0
	;; [unrolled: 1-line block ×8, first 2 shown]
	v_sub_nc_u32_e32 v67, v67, v96
	v_add_co_u32 v8, s13, v8, v96
	s_wait_alu 0xf1ff
	v_add_co_ci_u32_e64 v9, null, 0, v9, s13
	v_add_co_u32 v10, s13, v10, v96
	s_wait_alu 0xf1ff
	v_add_co_ci_u32_e64 v11, null, 0, v11, s13
	v_cmp_gt_i32_e64 s13, 16, v67
	v_sub_nc_u32_e32 v69, v69, v81
	s_wait_alu 0xfffe
	s_or_b32 s90, s13, s90
	s_wait_loadcnt 0x1
	v_bfe_u32 v180, v131, 8, 8
	v_lshrrev_b32_e32 v181, 24, v131
	s_wait_loadcnt 0x0
	v_bfe_u32 v56, v144, 8, 8
	v_lshrrev_b32_e32 v57, 24, v144
	v_lshrrev_b32_e32 v40, 24, v132
	v_cvt_f32_bf8_e32 v180, v180
	v_cvt_f32_bf8_e32 v181, v181
	;; [unrolled: 1-line block ×3, first 2 shown]
	v_and_b32_e32 v179, 0xff, v131
	v_bfe_u32 v131, v131, 16, 8
	v_cvt_f32_bf8_e32 v57, v57
	v_and_b32_e32 v47, 0xff, v144
	v_bfe_u32 v144, v144, 16, 8
	v_lshrrev_b32_e32 v60, 24, v145
	v_cvt_f32_bf8_e32 v131, v131
	v_bfe_u32 v183, v132, 8, 8
	v_bfe_u32 v59, v145, 8, 8
	v_cvt_f32_bf8_e32 v144, v144
	v_and_b32_e32 v44, 0xff, v134
	v_cvt_f32_bf8_e32 v40, v40
	v_cvt_f32_bf8_e32 v60, v60
	v_and_b32_e32 v58, 0xff, v145
	v_bfe_u32 v145, v145, 16, 8
	v_mul_f32_e32 v180, v180, v56
	v_cvt_f32_bf8_e32 v179, v179
	v_dual_mul_f32 v131, v131, v144 :: v_dual_mul_f32 v144, v181, v57
	v_cvt_f32_bf8_e32 v47, v47
	v_and_b32_e32 v182, 0xff, v132
	v_bfe_u32 v132, v132, 16, 8
	v_cvt_f32_bf8_e32 v145, v145
	v_cvt_f32_bf8_e32 v183, v183
	;; [unrolled: 1-line block ×3, first 2 shown]
	v_and_b32_e32 v41, 0xff, v133
	v_cvt_f32_bf8_e32 v132, v132
	v_and_b32_e32 v61, 0xff, v146
	v_mul_f32_e32 v179, v179, v47
	v_cvt_f32_bf8_e32 v182, v182
	v_bfe_u32 v42, v133, 8, 8
	v_mul_f32_e32 v132, v132, v145
	v_mul_f32_e32 v145, v40, v60
	v_cvt_f32_bf8_e32 v58, v58
	v_and_b32_e32 v72, 0xff, v147
	v_bfe_u32 v45, v134, 8, 8
	v_bfe_u32 v62, v146, 8, 8
	;; [unrolled: 1-line block ×3, first 2 shown]
	v_cvt_f32_bf8_e32 v44, v44
	v_cvt_f32_bf8_e32 v61, v61
	v_mul_f32_e32 v181, v182, v58
	v_cvt_f32_bf8_e32 v72, v72
	v_mul_f32_e32 v182, v183, v59
	v_cvt_f32_bf8_e32 v41, v41
	v_lshrrev_b32_e32 v43, 24, v133
	v_bfe_u32 v133, v133, 16, 8
	v_lshrrev_b32_e32 v46, 24, v134
	v_bfe_u32 v134, v134, 16, 8
	;; [unrolled: 2-line block ×4, first 2 shown]
	v_cvt_f32_bf8_e32 v42, v42
	v_cvt_f32_bf8_e32 v45, v45
	;; [unrolled: 1-line block ×4, first 2 shown]
	v_mul_f32_e32 v183, v41, v61
	v_mul_f32_e32 v41, v44, v72
	v_med3_num_f32 v44, v180, s59, 0xc7600000
	v_cmp_nlg_f32_e64 s14, 0x7f800000, |v180|
	v_cvt_f32_bf8_e32 v133, v133
	v_cvt_f32_bf8_e32 v134, v134
	;; [unrolled: 1-line block ×4, first 2 shown]
	v_mul_f32_e32 v40, v42, v62
	v_mul_f32_e32 v42, v45, v73
	v_med3_num_f32 v45, v131, s59, 0xc7600000
	v_cmp_nlg_f32_e64 s15, 0x7f800000, |v131|
	s_wait_alu 0xf1ff
	v_cndmask_b32_e64 v180, v44, v180, s14
	v_cvt_f32_bf8_e32 v43, v43
	v_cvt_f32_bf8_e32 v46, v46
	;; [unrolled: 1-line block ×4, first 2 shown]
	v_mul_f32_e32 v133, v133, v146
	v_med3_num_f32 v57, v132, s59, 0xc7600000
	v_cmp_nlg_f32_e64 s19, 0x7f800000, |v132|
	v_cndmask_b32_e64 v131, v45, v131, s15
	v_cvt_pk_bf8_f32 v148, v180, v180
	v_mul_f32_e32 v134, v134, v147
	v_mul_f32_e32 v146, v43, v63
	v_cmp_nlg_f32_e64 s16, 0x7f800000, |v144|
	v_med3_num_f32 v56, v182, s59, 0xc7600000
	v_cmp_nlg_f32_e64 s18, 0x7f800000, |v182|
	v_med3_num_f32 v60, v40, s59, 0xc7600000
	;; [unrolled: 2-line block ×4, first 2 shown]
	v_cmp_nlg_f32_e64 s26, 0x7f800000, |v42|
	s_wait_alu 0xf1ff
	v_cndmask_b32_e64 v132, v57, v132, s19
	v_cvt_pk_bf8_f32 v149, v131, v131
	v_mul_f32_e32 v147, v46, v74
	v_med3_num_f32 v46, v144, s59, 0xc7600000
	v_lshlrev_b32_e32 v131, 8, v148
	v_med3_num_f32 v73, v134, s59, 0xc7600000
	v_cmp_nlg_f32_e64 s27, 0x7f800000, |v134|
	v_med3_num_f32 v43, v179, s59, 0xc7600000
	v_med3_num_f32 v47, v181, s59, 0xc7600000
	v_cmp_nlg_f32_e64 s17, 0x7f800000, |v181|
	v_med3_num_f32 v58, v145, s59, 0xc7600000
	v_cmp_nlg_f32_e64 s20, 0x7f800000, |v145|
	;; [unrolled: 2-line block ×5, first 2 shown]
	v_cmp_nlg_f32_e64 s29, 0x7f800000, |v179|
	v_cndmask_b32_e64 v144, v46, v144, s16
	v_cndmask_b32_e64 v182, v56, v182, s18
	;; [unrolled: 1-line block ×5, first 2 shown]
	s_wait_alu 0xf1ff
	v_cndmask_b32_e64 v134, v73, v134, s27
	v_cvt_pk_bf8_f32 v161, v132, v132
	v_and_b32_e32 v132, 0xff, v149
	v_med3_num_f32 v74, v147, s59, 0xc7600000
	v_cmp_nlg_f32_e64 s28, 0x7f800000, |v147|
	v_cndmask_b32_e64 v179, v43, v179, s29
	v_cndmask_b32_e64 v181, v47, v181, s17
	;; [unrolled: 1-line block ×6, first 2 shown]
	s_wait_alu 0xf1ff
	v_cndmask_b32_e64 v147, v74, v147, s28
	v_cvt_pk_bf8_f32 v150, v144, v144
	v_cvt_pk_bf8_f32 v160, v182, v182
	;; [unrolled: 1-line block ×13, first 2 shown]
	v_lshlrev_b32_e32 v133, 24, v150
	v_lshlrev_b32_e32 v134, 8, v160
	v_and_b32_e32 v144, 0xff, v161
	v_lshlrev_b32_e32 v146, 8, v164
	v_and_b32_e32 v147, 0xff, v165
	v_lshlrev_b32_e32 v149, 8, v176
	v_and_b32_e32 v150, 0xff, v177
	v_lshlrev_b32_e32 v145, 24, v162
	v_lshlrev_b32_e32 v148, 24, v166
	;; [unrolled: 1-line block ×4, first 2 shown]
	v_perm_b32 v131, v131, v135, 0xc0c0500
	v_lshlrev_b32_e32 v135, 16, v144
	v_perm_b32 v134, v134, v151, 0xc0c0500
	v_lshlrev_b32_e32 v144, 16, v147
	;; [unrolled: 2-line block ×3, first 2 shown]
	v_perm_b32 v149, v149, v167, 0xc0c0500
	v_or3_b32 v131, v133, v132, v131
	v_or3_b32 v132, v145, v135, v134
	;; [unrolled: 1-line block ×3, first 2 shown]
	s_delay_alu instid0(VALU_DEP_4)
	v_or3_b32 v134, v160, v147, v149
	global_store_b128 v[64:65], v[131:134], off th:TH_STORE_NT
	v_add_co_u32 v64, s14, v64, v96
	s_wait_alu 0xf1ff
	v_add_co_ci_u32_e64 v65, null, 0, v65, s14
	s_wait_alu 0xfffe
	s_and_not1_b32 exec_lo, exec_lo, s90
	s_cbranch_execnz .LBB2_608
; %bb.609:                              ;   in Loop: Header=BB2_495 Depth=2
	s_or_b32 exec_lo, exec_lo, s90
.LBB2_610:                              ;   in Loop: Header=BB2_495 Depth=2
	s_wait_alu 0xfffe
	s_or_b32 exec_lo, exec_lo, s89
	v_dual_mov_b32 v64, 0 :: v_dual_and_b32 v9, 15, v130
	s_mov_b32 s14, 0
	s_mov_b32 s89, exec_lo
                                        ; implicit-def: $vgpr65
                                        ; implicit-def: $vgpr133
                                        ; implicit-def: $vgpr8
	s_delay_alu instid0(VALU_DEP_1) | instskip(NEXT) | instid1(VALU_DEP_1)
	v_cndmask_b32_e32 v67, v68, v9, vcc_lo
	v_cmpx_ne_u32_e32 0, v67
	s_cbranch_execz .LBB2_618
; %bb.611:                              ;   in Loop: Header=BB2_495 Depth=2
	v_cmp_lt_i32_e64 s13, 0, v69
	v_ashrrev_i32_e32 v11, 31, v67
	v_sub_nc_u32_e32 v9, v68, v9
	s_mov_b32 s90, exec_lo
	s_wait_alu 0xf1ff
	v_cndmask_b32_e64 v8, 0, v81, s13
	v_lshrrev_b32_e32 v11, 23, v11
	v_cndmask_b32_e32 v9, 0, v9, vcc_lo
	s_delay_alu instid0(VALU_DEP_3) | instskip(NEXT) | instid1(VALU_DEP_3)
	v_sub_nc_u32_e32 v8, v8, v69
	v_add_nc_u32_e32 v11, v67, v11
	s_delay_alu instid0(VALU_DEP_3) | instskip(NEXT) | instid1(VALU_DEP_3)
	v_add_nc_u32_e32 v66, v9, v66
	v_lshl_add_u32 v8, v8, 5, v114
	s_delay_alu instid0(VALU_DEP_3) | instskip(SKIP_1) | instid1(VALU_DEP_3)
	v_and_b32_e32 v69, 0xfffffe00, v11
	v_ashrrev_i32_e32 v11, 9, v11
	v_ashrrev_i32_e32 v10, 31, v8
	s_delay_alu instid0(VALU_DEP_3) | instskip(NEXT) | instid1(VALU_DEP_2)
	v_sub_nc_u32_e32 v68, v67, v69
	v_lshrrev_b32_e32 v10, 27, v10
	s_delay_alu instid0(VALU_DEP_2) | instskip(NEXT) | instid1(VALU_DEP_2)
	v_cmp_lt_i32_e32 vcc_lo, 15, v68
	v_add_nc_u32_e32 v10, v8, v10
	s_wait_alu 0xfffd
	v_add_co_ci_u32_e64 v11, null, 0, v11, vcc_lo
	s_delay_alu instid0(VALU_DEP_2) | instskip(SKIP_1) | instid1(VALU_DEP_2)
	v_and_b32_e32 v64, 0xffffffe0, v10
	v_ashrrev_i32_e32 v10, 5, v10
	v_sub_nc_u32_e32 v131, v8, v64
	s_delay_alu instid0(VALU_DEP_2) | instskip(NEXT) | instid1(VALU_DEP_2)
	v_sub_nc_u32_e32 v132, v11, v10
	v_lshlrev_b32_e32 v8, 4, v131
	s_delay_alu instid0(VALU_DEP_1) | instskip(NEXT) | instid1(VALU_DEP_1)
	v_lshl_add_u32 v8, v10, 9, v8
	v_sub_nc_u32_e32 v133, v67, v8
	s_delay_alu instid0(VALU_DEP_1)
	v_cmpx_lt_i32_e32 15, v133
	s_cbranch_execz .LBB2_615
; %bb.612:                              ;   in Loop: Header=BB2_495 Depth=2
	s_trap 2
	ds_load_b64 v[10:11], v0
	v_add_nc_u32_e32 v64, v8, v66
	s_mov_b32 s91, 0
	s_delay_alu instid0(VALU_DEP_1) | instskip(SKIP_2) | instid1(VALU_DEP_2)
	v_ashrrev_i32_e32 v65, 31, v64
	v_add_co_u32 v8, s13, v64, v51
	s_wait_alu 0xf1ff
	v_add_co_ci_u32_e64 v9, null, v65, v52, s13
	s_wait_dscnt 0x0
	v_add_co_u32 v10, s13, v10, v64
	s_wait_alu 0xf1ff
	v_add_co_ci_u32_e64 v11, null, v11, v65, s13
	v_add_co_u32 v64, s13, v64, v53
	s_wait_alu 0xf1ff
	v_add_co_ci_u32_e64 v65, null, v65, v54, s13
.LBB2_613:                              ;   Parent Loop BB2_47 Depth=1
                                        ;     Parent Loop BB2_495 Depth=2
                                        ; =>    This Inner Loop Header: Depth=3
	global_load_b128 v[144:147], v[10:11], off th:TH_LOAD_NT
	global_load_b128 v[148:151], v[8:9], off th:TH_LOAD_NT
	v_dual_mov_b32 v134, 0 :: v_dual_mov_b32 v135, 0
	v_dual_mov_b32 v160, 0 :: v_dual_mov_b32 v161, 0
	;; [unrolled: 1-line block ×8, first 2 shown]
	v_sub_nc_u32_e32 v133, v133, v96
	v_add_co_u32 v8, s13, v8, v96
	s_wait_alu 0xf1ff
	v_add_co_ci_u32_e64 v9, null, 0, v9, s13
	v_add_co_u32 v10, s13, v10, v96
	s_wait_alu 0xf1ff
	v_add_co_ci_u32_e64 v11, null, 0, v11, s13
	v_cmp_gt_i32_e64 s13, 16, v133
	v_sub_nc_u32_e32 v132, v132, v81
	s_wait_alu 0xfffe
	s_or_b32 s91, s13, s91
	s_wait_loadcnt 0x1
	v_bfe_u32 v183, v144, 8, 8
	v_bfe_u32 v42, v145, 8, 8
	s_wait_loadcnt 0x0
	v_bfe_u32 v59, v148, 8, 8
	v_bfe_u32 v62, v149, 8, 8
	v_lshrrev_b32_e32 v40, 24, v144
	v_lshrrev_b32_e32 v60, 24, v148
	v_cvt_f32_bf8_e32 v183, v183
	v_cvt_f32_bf8_e32 v42, v42
	v_cvt_f32_bf8_e32 v59, v59
	v_and_b32_e32 v182, 0xff, v144
	v_bfe_u32 v144, v144, 16, 8
	v_cvt_f32_bf8_e32 v62, v62
	v_and_b32_e32 v58, 0xff, v148
	v_bfe_u32 v148, v148, 16, 8
	v_lshrrev_b32_e32 v43, 24, v145
	v_lshrrev_b32_e32 v63, 24, v149
	v_cvt_f32_bf8_e32 v144, v144
	v_cvt_f32_bf8_e32 v40, v40
	;; [unrolled: 1-line block ×5, first 2 shown]
	v_and_b32_e32 v61, 0xff, v149
	v_bfe_u32 v149, v149, 16, 8
	v_mul_f32_e32 v183, v183, v59
	v_cvt_f32_bf8_e32 v182, v182
	v_and_b32_e32 v41, 0xff, v145
	v_bfe_u32 v145, v145, 16, 8
	v_bfe_u32 v45, v146, 8, 8
	v_lshrrev_b32_e32 v46, 24, v146
	v_dual_mul_f32 v144, v144, v148 :: v_dual_and_b32 v47, 0xff, v147
	v_bfe_u32 v56, v147, 8, 8
	v_lshrrev_b32_e32 v57, 24, v147
	v_bfe_u32 v147, v147, 16, 8
	v_bfe_u32 v73, v150, 8, 8
	v_lshrrev_b32_e32 v74, 24, v150
	v_bfe_u32 v76, v151, 8, 8
	v_lshrrev_b32_e32 v77, 24, v151
	v_cvt_f32_bf8_e32 v145, v145
	v_cvt_f32_bf8_e32 v43, v43
	;; [unrolled: 1-line block ×3, first 2 shown]
	v_and_b32_e32 v44, 0xff, v146
	v_bfe_u32 v146, v146, 16, 8
	v_cvt_f32_bf8_e32 v63, v63
	v_and_b32_e32 v72, 0xff, v150
	v_bfe_u32 v150, v150, 16, 8
	v_mul_f32_e32 v182, v182, v58
	v_cvt_f32_bf8_e32 v41, v41
	v_mul_f32_e32 v148, v40, v60
	v_cvt_f32_bf8_e32 v61, v61
	v_and_b32_e32 v75, 0xff, v151
	v_bfe_u32 v151, v151, 16, 8
	v_cvt_f32_bf8_e32 v45, v45
	v_cvt_f32_bf8_e32 v146, v146
	;; [unrolled: 1-line block ×10, first 2 shown]
	v_mul_f32_e32 v145, v145, v149
	v_cvt_f32_bf8_e32 v44, v44
	v_mul_f32_e32 v149, v43, v63
	v_cvt_f32_bf8_e32 v72, v72
	v_cvt_f32_bf8_e32 v47, v47
	v_cvt_f32_bf8_e32 v57, v57
	v_cvt_f32_bf8_e32 v77, v77
	v_mul_f32_e32 v40, v41, v61
	v_cvt_f32_bf8_e32 v75, v75
	v_dual_mul_f32 v41, v42, v62 :: v_dual_mul_f32 v42, v44, v72
	v_dual_mul_f32 v43, v45, v73 :: v_dual_mul_f32 v146, v146, v150
	;; [unrolled: 1-line block ×3, first 2 shown]
	v_mul_f32_e32 v147, v147, v151
	v_dual_mul_f32 v44, v47, v75 :: v_dual_mul_f32 v151, v57, v77
	v_med3_num_f32 v47, v183, s59, 0xc7600000
	v_cmp_nlg_f32_e64 s14, 0x7f800000, |v183|
	v_med3_num_f32 v56, v144, s59, 0xc7600000
	v_cmp_nlg_f32_e64 s15, 0x7f800000, |v144|
	;; [unrolled: 2-line block ×9, first 2 shown]
	v_med3_num_f32 v46, v182, s59, 0xc7600000
	v_med3_num_f32 v58, v40, s59, 0xc7600000
	v_cmp_nlg_f32_e64 s17, 0x7f800000, |v40|
	v_med3_num_f32 v61, v149, s59, 0xc7600000
	v_cmp_nlg_f32_e64 s20, 0x7f800000, |v149|
	;; [unrolled: 2-line block ×6, first 2 shown]
	v_cmp_nlg_f32_e64 s29, 0x7f800000, |v182|
	s_wait_alu 0xf1ff
	v_cndmask_b32_e64 v183, v47, v183, s14
	v_cndmask_b32_e64 v144, v56, v144, s15
	;; [unrolled: 1-line block ×16, first 2 shown]
	v_cvt_pk_bf8_f32 v135, v183, v183
	v_cvt_pk_bf8_f32 v160, v144, v144
	;; [unrolled: 1-line block ×16, first 2 shown]
	v_lshlrev_b32_e32 v135, 8, v135
	v_and_b32_e32 v144, 0xff, v160
	v_lshlrev_b32_e32 v145, 24, v161
	v_lshlrev_b32_e32 v146, 8, v163
	v_and_b32_e32 v147, 0xff, v164
	v_lshlrev_b32_e32 v149, 8, v167
	v_and_b32_e32 v150, 0xff, v176
	;; [unrolled: 2-line block ×3, first 2 shown]
	v_lshlrev_b32_e32 v148, 24, v165
	v_lshlrev_b32_e32 v151, 24, v177
	;; [unrolled: 1-line block ×4, first 2 shown]
	v_perm_b32 v134, v135, v134, 0xc0c0500
	v_lshlrev_b32_e32 v135, 16, v147
	v_perm_b32 v146, v146, v162, 0xc0c0500
	v_lshlrev_b32_e32 v147, 16, v150
	;; [unrolled: 2-line block ×3, first 2 shown]
	v_perm_b32 v160, v160, v178, 0xc0c0500
	v_or3_b32 v144, v145, v144, v134
	v_or3_b32 v145, v148, v135, v146
	;; [unrolled: 1-line block ×3, first 2 shown]
	s_delay_alu instid0(VALU_DEP_4)
	v_or3_b32 v147, v163, v150, v160
	global_store_b128 v[64:65], v[144:147], off th:TH_STORE_NT
	v_add_co_u32 v64, s14, v64, v96
	s_wait_alu 0xf1ff
	v_add_co_ci_u32_e64 v65, null, 0, v65, s14
	s_wait_alu 0xfffe
	s_and_not1_b32 exec_lo, exec_lo, s91
	s_cbranch_execnz .LBB2_613
; %bb.614:                              ;   in Loop: Header=BB2_495 Depth=2
	s_or_b32 exec_lo, exec_lo, s91
.LBB2_615:                              ;   in Loop: Header=BB2_495 Depth=2
	s_wait_alu 0xfffe
	s_or_b32 exec_lo, exec_lo, s90
	v_dual_mov_b32 v64, 0 :: v_dual_and_b32 v9, 15, v67
	s_mov_b32 s14, 0
	s_mov_b32 s15, exec_lo
                                        ; implicit-def: $vgpr133
                                        ; implicit-def: $vgpr8
	s_delay_alu instid0(VALU_DEP_1) | instskip(NEXT) | instid1(VALU_DEP_1)
	v_cndmask_b32_e32 v65, v68, v9, vcc_lo
	v_cmpx_ne_u32_e32 0, v65
	s_cbranch_execz .LBB2_617
; %bb.616:                              ;   in Loop: Header=BB2_495 Depth=2
	v_cmp_lt_i32_e64 s13, 0, v132
	v_sub_nc_u32_e32 v9, v68, v9
	s_mov_b32 s14, exec_lo
	s_wait_alu 0xf1ff
	v_cndmask_b32_e64 v8, 0, v81, s13
	s_delay_alu instid0(VALU_DEP_1) | instskip(NEXT) | instid1(VALU_DEP_1)
	v_sub_nc_u32_e32 v8, v8, v132
	v_lshl_add_u32 v133, v8, 5, v131
	s_delay_alu instid0(VALU_DEP_1) | instskip(NEXT) | instid1(VALU_DEP_1)
	v_ashrrev_i32_e32 v8, 31, v133
	v_lshrrev_b32_e32 v8, 27, v8
	s_delay_alu instid0(VALU_DEP_1) | instskip(NEXT) | instid1(VALU_DEP_1)
	v_dual_cndmask_b32 v9, 0, v9 :: v_dual_add_nc_u32 v8, v133, v8
	v_add3_u32 v64, v69, v66, v9
	s_delay_alu instid0(VALU_DEP_2)
	v_ashrrev_i32_e32 v8, 5, v8
.LBB2_617:                              ;   in Loop: Header=BB2_495 Depth=2
	s_wait_alu 0xfffe
	s_or_b32 exec_lo, exec_lo, s15
	s_delay_alu instid0(SALU_CYCLE_1)
	s_and_b32 s14, s14, exec_lo
.LBB2_618:                              ;   in Loop: Header=BB2_495 Depth=2
	s_wait_alu 0xfffe
	s_or_b32 exec_lo, exec_lo, s89
	s_and_saveexec_b32 s21, s14
	s_cbranch_execz .LBB2_627
.LBB2_619:                              ;   in Loop: Header=BB2_495 Depth=2
	v_ashrrev_i32_e32 v9, 31, v65
	s_mov_b32 s22, exec_lo
	s_delay_alu instid0(VALU_DEP_1) | instskip(NEXT) | instid1(VALU_DEP_1)
	v_lshrrev_b32_e32 v9, 24, v9
	v_add_nc_u32_e32 v9, v65, v9
	s_delay_alu instid0(VALU_DEP_1) | instskip(SKIP_1) | instid1(VALU_DEP_2)
	v_ashrrev_i32_e32 v68, 8, v9
	v_ashrrev_i32_e32 v9, 31, v133
	v_sub_nc_u32_e32 v66, v68, v8
	s_delay_alu instid0(VALU_DEP_2) | instskip(NEXT) | instid1(VALU_DEP_2)
	v_lshrrev_b32_e32 v67, 27, v9
	v_cmpx_lt_i32_e32 0, v66
	s_cbranch_execz .LBB2_623
; %bb.620:                              ;   in Loop: Header=BB2_495 Depth=2
	s_delay_alu instid0(VALU_DEP_2)
	v_add_nc_u32_e32 v9, v133, v67
	s_trap 2
	ds_load_b64 v[10:11], v0
	v_lshlrev_b32_e32 v8, 8, v8
	v_add_co_u32 v53, vcc_lo, 0xe0, v53
	v_and_b32_e32 v9, 0xffffffe0, v9
	s_wait_alu 0xfffd
	v_add_co_ci_u32_e64 v54, null, 0, v54, vcc_lo
	s_mov_b32 s23, 0
	v_sub_nc_u32_e32 v9, v133, v9
	s_delay_alu instid0(VALU_DEP_1) | instskip(NEXT) | instid1(VALU_DEP_1)
	v_add3_u32 v69, v64, v9, v8
	v_ashrrev_i32_e32 v131, 31, v69
	v_add_co_u32 v8, vcc_lo, v69, v51
	s_wait_alu 0xfffd
	s_delay_alu instid0(VALU_DEP_2)
	v_add_co_ci_u32_e64 v9, null, v131, v52, vcc_lo
	s_wait_dscnt 0x0
	v_add_co_u32 v10, vcc_lo, v10, v69
	s_wait_alu 0xfffd
	v_add_co_ci_u32_e64 v11, null, v11, v131, vcc_lo
	v_add_co_u32 v51, vcc_lo, v53, v69
	s_wait_alu 0xfffd
	v_add_co_ci_u32_e64 v52, null, v54, v131, vcc_lo
.LBB2_621:                              ;   Parent Loop BB2_47 Depth=1
                                        ;     Parent Loop BB2_495 Depth=2
                                        ; =>    This Inner Loop Header: Depth=3
	flat_load_u8 v53, v[8:9] th:TH_LOAD_NT
	flat_load_u8 v54, v[10:11] th:TH_LOAD_NT
	flat_load_u8 v69, v[8:9] offset:32 th:TH_LOAD_NT
	flat_load_u8 v131, v[10:11] offset:32 th:TH_LOAD_NT
	;; [unrolled: 1-line block ×14, first 2 shown]
	v_dual_mov_b32 v161, 0 :: v_dual_mov_b32 v162, 0
	v_dual_mov_b32 v163, 0 :: v_dual_mov_b32 v164, 0
	;; [unrolled: 1-line block ×4, first 2 shown]
	v_sub_nc_u32_e32 v66, v66, v81
	v_add_co_u32 v8, vcc_lo, v8, v97
	s_wait_alu 0xfffd
	v_add_co_ci_u32_e64 v9, null, 0, v9, vcc_lo
	v_add_co_u32 v10, vcc_lo, v10, v97
	s_wait_alu 0xfffd
	v_add_co_ci_u32_e64 v11, null, 0, v11, vcc_lo
	v_cmp_gt_i32_e32 vcc_lo, 1, v66
	s_wait_alu 0xfffe
	s_or_b32 s23, vcc_lo, s23
	s_wait_loadcnt_dscnt 0xf0f
	v_cvt_f32_bf8_e32 v53, v53
	s_wait_loadcnt_dscnt 0xe0e
	v_cvt_f32_bf8_e32 v54, v54
	s_wait_loadcnt_dscnt 0xd0d
	v_cvt_f32_bf8_e32 v69, v69
	s_wait_loadcnt_dscnt 0xc0c
	v_cvt_f32_bf8_e32 v131, v131
	s_wait_loadcnt_dscnt 0xb0b
	v_cvt_f32_bf8_e32 v132, v132
	s_wait_loadcnt_dscnt 0xa0a
	v_cvt_f32_bf8_e32 v134, v134
	s_wait_loadcnt_dscnt 0x909
	v_cvt_f32_bf8_e32 v135, v135
	s_wait_loadcnt_dscnt 0x808
	v_cvt_f32_bf8_e32 v144, v144
	s_wait_loadcnt_dscnt 0x707
	v_cvt_f32_bf8_e32 v145, v145
	s_wait_loadcnt_dscnt 0x606
	v_cvt_f32_bf8_e32 v146, v146
	s_wait_loadcnt_dscnt 0x505
	v_cvt_f32_bf8_e32 v147, v147
	s_wait_loadcnt_dscnt 0x404
	v_cvt_f32_bf8_e32 v148, v148
	s_wait_loadcnt_dscnt 0x303
	v_cvt_f32_bf8_e32 v149, v149
	s_wait_loadcnt_dscnt 0x202
	v_cvt_f32_bf8_e32 v150, v150
	s_wait_loadcnt_dscnt 0x101
	v_cvt_f32_bf8_e32 v151, v151
	s_wait_loadcnt_dscnt 0x0
	v_cvt_f32_bf8_e32 v160, v160
	v_mul_f32_e32 v53, v53, v54
	v_dual_mul_f32 v54, v69, v131 :: v_dual_mul_f32 v69, v132, v134
	v_dual_mul_f32 v131, v135, v144 :: v_dual_mul_f32 v132, v145, v146
	;; [unrolled: 1-line block ×3, first 2 shown]
	v_mul_f32_e32 v144, v151, v160
	v_med3_num_f32 v145, v53, s59, 0xc7600000
	v_cmp_nlg_f32_e64 s20, 0x7f800000, |v53|
	v_med3_num_f32 v146, v54, s59, 0xc7600000
	v_cmp_nlg_f32_e64 s13, 0x7f800000, |v54|
	;; [unrolled: 2-line block ×8, first 2 shown]
	s_wait_alu 0xf1ff
	v_cndmask_b32_e64 v53, v145, v53, s20
	v_cndmask_b32_e64 v54, v146, v54, s13
	;; [unrolled: 1-line block ×8, first 2 shown]
	v_cvt_pk_bf8_f32 v161, v53, v53
	v_cvt_pk_bf8_f32 v162, v54, v54
	;; [unrolled: 1-line block ×8, first 2 shown]
	s_clause 0x7
	flat_store_b8 v[51:52], v161 offset:-224 th:TH_STORE_NT
	flat_store_b8 v[51:52], v162 offset:-192 th:TH_STORE_NT
	;; [unrolled: 1-line block ×7, first 2 shown]
	flat_store_b8 v[51:52], v176 th:TH_STORE_NT
	v_add_co_u32 v51, s13, v51, v97
	s_wait_alu 0xf1ff
	v_add_co_ci_u32_e64 v52, null, 0, v52, s13
	s_wait_alu 0xfffe
	s_and_not1_b32 exec_lo, exec_lo, s23
	s_cbranch_execnz .LBB2_621
; %bb.622:                              ;   in Loop: Header=BB2_495 Depth=2
	s_or_b32 exec_lo, exec_lo, s23
.LBB2_623:                              ;   in Loop: Header=BB2_495 Depth=2
	s_wait_alu 0xfffe
	s_or_b32 exec_lo, exec_lo, s22
	v_lshlrev_b32_e32 v8, 8, v68
	s_delay_alu instid0(VALU_DEP_1)
	v_cmp_ne_u32_e32 vcc_lo, v65, v8
	s_and_b32 exec_lo, exec_lo, vcc_lo
	s_cbranch_execz .LBB2_627
; %bb.624:                              ;   in Loop: Header=BB2_495 Depth=2
	v_add_nc_u32_e32 v9, v133, v67
	v_lshlrev_b32_e32 v10, 5, v66
	s_delay_alu instid0(VALU_DEP_2) | instskip(NEXT) | instid1(VALU_DEP_1)
	v_and_b32_e32 v9, 0xffffffe0, v9
	v_sub_nc_u32_e32 v9, v133, v9
	s_delay_alu instid0(VALU_DEP_1) | instskip(NEXT) | instid1(VALU_DEP_1)
	v_sub_nc_u32_e32 v9, v9, v10
	v_add_nc_u32_e32 v8, v8, v9
	s_delay_alu instid0(VALU_DEP_1) | instskip(NEXT) | instid1(VALU_DEP_1)
	v_sub_nc_u32_e32 v53, v65, v8
	v_cmp_lt_i32_e32 vcc_lo, 0, v53
	s_and_b32 exec_lo, exec_lo, vcc_lo
	s_cbranch_execz .LBB2_627
; %bb.625:                              ;   in Loop: Header=BB2_495 Depth=2
	s_trap 2
	ds_load_b128 v[65:68], v0
	ds_load_b64 v[51:52], v0
	v_add_nc_u32_e32 v54, v8, v64
	s_mov_b32 s14, 0
	s_delay_alu instid0(VALU_DEP_1) | instskip(SKIP_3) | instid1(VALU_DEP_2)
	v_ashrrev_i32_e32 v64, 31, v54
	s_wait_dscnt 0x1
	v_add_co_u32 v8, vcc_lo, v65, v54
	s_wait_alu 0xfffd
	v_add_co_ci_u32_e64 v9, null, v66, v64, vcc_lo
	v_add_co_u32 v10, vcc_lo, v67, v54
	s_wait_alu 0xfffd
	v_add_co_ci_u32_e64 v11, null, v68, v64, vcc_lo
	s_wait_dscnt 0x0
	v_add_co_u32 v51, vcc_lo, v51, v54
	s_wait_alu 0xfffd
	v_add_co_ci_u32_e64 v52, null, v52, v64, vcc_lo
.LBB2_626:                              ;   Parent Loop BB2_47 Depth=1
                                        ;     Parent Loop BB2_495 Depth=2
                                        ; =>    This Inner Loop Header: Depth=3
	flat_load_u8 v54, v[10:11] th:TH_LOAD_NT
	flat_load_u8 v64, v[8:9] th:TH_LOAD_NT
	v_sub_nc_u32_e32 v53, v53, v82
	v_add_co_u32 v8, vcc_lo, v8, v82
	s_wait_alu 0xfffd
	v_add_co_ci_u32_e64 v9, null, 0, v9, vcc_lo
	v_add_co_u32 v10, vcc_lo, v10, v82
	s_wait_alu 0xfffd
	v_add_co_ci_u32_e64 v11, null, 0, v11, vcc_lo
	v_cmp_gt_i32_e32 vcc_lo, 1, v53
	s_wait_alu 0xfffe
	s_or_b32 s14, vcc_lo, s14
	s_wait_loadcnt_dscnt 0x101
	v_cvt_f32_bf8_e32 v54, v54
	s_wait_loadcnt_dscnt 0x0
	v_cvt_f32_bf8_e32 v64, v64
	s_delay_alu instid0(VALU_DEP_1) | instskip(NEXT) | instid1(VALU_DEP_1)
	v_dual_mov_b32 v65, 0 :: v_dual_mul_f32 v54, v54, v64
	v_med3_num_f32 v64, v54, s59, 0xc7600000
	v_cmp_nlg_f32_e64 s13, 0x7f800000, |v54|
	s_wait_alu 0xf1ff
	s_delay_alu instid0(VALU_DEP_1) | instskip(NEXT) | instid1(VALU_DEP_1)
	v_cndmask_b32_e64 v54, v64, v54, s13
	v_cvt_pk_bf8_f32 v65, v54, v54
	flat_store_b8 v[51:52], v65 th:TH_STORE_NT
	v_add_co_u32 v51, s13, v51, v82
	s_wait_alu 0xf1ff
	v_add_co_ci_u32_e64 v52, null, 0, v52, s13
	s_wait_alu 0xfffe
	s_and_not1_b32 exec_lo, exec_lo, s14
	s_cbranch_execnz .LBB2_626
.LBB2_627:                              ;   in Loop: Header=BB2_495 Depth=2
	s_wait_alu 0xfffe
	s_or_b32 exec_lo, exec_lo, s21
.LBB2_628:                              ;   in Loop: Header=BB2_495 Depth=2
	v_cmp_lt_i32_e64 s13, 0, v130
	s_and_saveexec_b32 s14, s2
	s_cbranch_execz .LBB2_647
.LBB2_629:                              ;   in Loop: Header=BB2_495 Depth=2
	s_and_saveexec_b32 s15, s3
	s_wait_alu 0xfffe
	s_xor_b32 s15, exec_lo, s15
	s_cbranch_execz .LBB2_644
; %bb.630:                              ;   in Loop: Header=BB2_495 Depth=2
	s_and_saveexec_b32 s16, s6
	s_cbranch_execz .LBB2_643
; %bb.631:                              ;   in Loop: Header=BB2_495 Depth=2
	s_mov_b32 s18, exec_lo
	s_mov_b32 s17, exec_lo
	s_wait_alu 0xfffe
	v_mbcnt_lo_u32_b32 v8, s18, 0
	s_wait_storecnt 0x0
	s_wait_loadcnt_dscnt 0x0
	global_inv scope:SCOPE_DEV
	v_cmpx_eq_u32_e32 0, v8
	s_cbranch_execz .LBB2_633
; %bb.632:                              ;   in Loop: Header=BB2_495 Depth=2
	s_bcnt1_i32_b32 s18, s18
	s_wait_alu 0xfffe
	v_dual_mov_b32 v9, v2 :: v_dual_mov_b32 v8, s18
	s_wait_loadcnt 0x0
	ds_add_u64 v0, v[8:9]
	s_trap 2
.LBB2_633:                              ;   in Loop: Header=BB2_495 Depth=2
	s_or_b32 exec_lo, exec_lo, s17
	s_trap 2
	ds_load_b64 v[8:9], v0
	s_wait_dscnt 0x0
	global_inv scope:SCOPE_SE
	v_add_co_u32 v12, vcc_lo, v12, v81
	s_wait_alu 0xfffd
	v_add_co_ci_u32_e64 v13, null, 0, v13, vcc_lo
	s_mov_b32 s17, exec_lo
	v_cmpx_lt_u64_e64 v[8:9], v[12:13]
	s_cbranch_execz .LBB2_642
; %bb.634:                              ;   in Loop: Header=BB2_495 Depth=2
	s_mov_b32 s18, 0
	s_mov_b32 s21, 0
                                        ; implicit-def: $sgpr19
                                        ; implicit-def: $sgpr20
	s_branch .LBB2_636
.LBB2_635:                              ;   in Loop: Header=BB2_636 Depth=3
	s_wait_alu 0xfffe
	s_or_b32 exec_lo, exec_lo, s23
	s_delay_alu instid0(SALU_CYCLE_1)
	s_and_b32 s22, exec_lo, s24
	s_wait_alu 0xfffe
	s_or_b32 s18, s22, s18
	s_and_not1_b32 s19, s19, exec_lo
	s_and_b32 s22, s20, exec_lo
	s_wait_alu 0xfffe
	s_or_b32 s19, s19, s22
	s_and_not1_b32 exec_lo, exec_lo, s18
	s_cbranch_execz .LBB2_640
.LBB2_636:                              ;   Parent Loop BB2_47 Depth=1
                                        ;     Parent Loop BB2_495 Depth=2
                                        ; =>    This Inner Loop Header: Depth=3
	s_wait_alu 0xfffe
	s_add_co_i32 s21, s21, 1
	s_wait_alu 0xfffe
	s_cmp_lg_u32 s21, 0x2710
	s_cselect_b32 s22, -1, 0
	s_wait_alu 0xfffe
	s_and_b32 vcc_lo, exec_lo, s22
	s_wait_alu 0xfffe
	s_cbranch_vccz .LBB2_638
; %bb.637:                              ;   in Loop: Header=BB2_636 Depth=3
	s_mov_b32 s24, -1
	s_or_b32 s20, s20, exec_lo
	s_and_saveexec_b32 s23, s22
	s_cbranch_execz .LBB2_635
	s_branch .LBB2_639
.LBB2_638:                              ;   in Loop: Header=BB2_636 Depth=3
	s_trap 2
	ds_load_b64 v[8:9], v0
	s_and_not1_b32 s22, s22, exec_lo
	s_mov_b32 s21, 0
	s_wait_loadcnt_dscnt 0x0
	flat_load_b32 v8, v[8:9] scope:SCOPE_SYS
	s_wait_loadcnt_dscnt 0x0
	global_inv scope:SCOPE_SYS
	v_cmp_eq_u32_e32 vcc_lo, 0, v8
	s_and_b32 s23, vcc_lo, exec_lo
	s_wait_alu 0xfffe
	s_or_b32 s22, s22, s23
	s_mov_b32 s24, -1
	s_or_b32 s20, s20, exec_lo
	s_wait_alu 0xfffe
	s_and_saveexec_b32 s23, s22
	s_cbranch_execz .LBB2_635
.LBB2_639:                              ;   in Loop: Header=BB2_636 Depth=3
	s_sleep 1
	s_trap 2
	ds_load_b64 v[8:9], v0
	s_wait_dscnt 0x0
	global_inv scope:SCOPE_SE
	s_wait_alu 0xfffe
	s_and_not1_b32 s20, s20, exec_lo
	v_cmp_ge_u64_e32 vcc_lo, v[8:9], v[12:13]
	s_or_not1_b32 s24, vcc_lo, exec_lo
	s_branch .LBB2_635
.LBB2_640:                              ;   in Loop: Header=BB2_495 Depth=2
	s_or_b32 exec_lo, exec_lo, s18
	s_wait_alu 0xfffe
	s_and_saveexec_b32 s18, s19
	s_wait_alu 0xfffe
	s_xor_b32 s18, exec_lo, s18
	s_cbranch_execz .LBB2_642
; %bb.641:                              ;   in Loop: Header=BB2_495 Depth=2
	ds_store_b32 v0, v84
	s_trap 2
.LBB2_642:                              ;   in Loop: Header=BB2_495 Depth=2
	s_wait_alu 0xfffe
	s_or_b32 exec_lo, exec_lo, s17
	;;#ASMSTART
	s_wakeup
	;;#ASMEND
.LBB2_643:                              ;   in Loop: Header=BB2_495 Depth=2
	s_wait_alu 0xfffe
	s_or_b32 exec_lo, exec_lo, s16
.LBB2_644:                              ;   in Loop: Header=BB2_495 Depth=2
	s_wait_alu 0xfffe
	s_and_not1_saveexec_b32 s15, s15
	s_cbranch_execz .LBB2_646
; %bb.645:                              ;   in Loop: Header=BB2_495 Depth=2
	s_wait_storecnt 0x0
	s_wait_loadcnt_dscnt 0x0
	global_inv scope:SCOPE_DEV
	s_barrier_signal -1
	s_barrier_wait -1
.LBB2_646:                              ;   in Loop: Header=BB2_495 Depth=2
	s_wait_alu 0xfffe
	s_or_b32 exec_lo, exec_lo, s15
.LBB2_647:                              ;   in Loop: Header=BB2_495 Depth=2
	s_wait_alu 0xfffe
	s_or_b32 exec_lo, exec_lo, s14
	v_and_b32_e32 v8, 16, v70
	s_and_saveexec_b32 s14, s7
	s_wait_alu 0xfffe
	s_xor_b32 s14, exec_lo, s14
	s_cbranch_execz .LBB2_651
; %bb.648:                              ;   in Loop: Header=BB2_495 Depth=2
	v_and_b32_e32 v8, 16, v70
	s_delay_alu instid0(VALU_DEP_1)
	v_cmp_ne_u32_e32 vcc_lo, 0, v8
	v_and_b32_e32 v8, 16, v70
	s_and_b32 s15, vcc_lo, s13
	s_wait_alu 0xfffe
	s_and_saveexec_b32 s13, s15
	s_cbranch_execz .LBB2_650
; %bb.649:                              ;   in Loop: Header=BB2_495 Depth=2
	v_mov_b32_e32 v8, 1
	global_wb scope:SCOPE_SYS
	s_wait_storecnt 0x0
	s_wait_loadcnt_dscnt 0x0
	global_inv scope:SCOPE_SYS
.LBB2_650:                              ;   in Loop: Header=BB2_495 Depth=2
	s_wait_alu 0xfffe
	s_or_b32 exec_lo, exec_lo, s13
.LBB2_651:                              ;   in Loop: Header=BB2_495 Depth=2
	s_wait_alu 0xfffe
	s_and_not1_saveexec_b32 s13, s14
	s_cbranch_execz .LBB2_670
; %bb.652:                              ;   in Loop: Header=BB2_495 Depth=2
	s_and_saveexec_b32 s14, s3
	s_wait_alu 0xfffe
	s_xor_b32 s14, exec_lo, s14
	s_cbranch_execz .LBB2_667
; %bb.653:                              ;   in Loop: Header=BB2_495 Depth=2
	s_and_saveexec_b32 s15, s6
	s_cbranch_execz .LBB2_666
; %bb.654:                              ;   in Loop: Header=BB2_495 Depth=2
	s_mov_b32 s17, exec_lo
	s_mov_b32 s16, exec_lo
	s_wait_alu 0xfffe
	v_mbcnt_lo_u32_b32 v9, s17, 0
	;;#ASMSTART
	s_waitcnt lgkmcnt(0) vmcnt(0)
	;;#ASMEND
	s_delay_alu instid0(VALU_DEP_1)
	v_cmpx_eq_u32_e32 0, v9
	s_cbranch_execz .LBB2_656
; %bb.655:                              ;   in Loop: Header=BB2_495 Depth=2
	s_bcnt1_i32_b32 s17, s17
	s_wait_alu 0xfffe
	v_dual_mov_b32 v10, v2 :: v_dual_mov_b32 v9, s17
	s_wait_storecnt 0x0
	s_wait_loadcnt_dscnt 0x0
	ds_add_u64 v0, v[9:10]
	s_trap 2
.LBB2_656:                              ;   in Loop: Header=BB2_495 Depth=2
	s_or_b32 exec_lo, exec_lo, s16
	s_trap 2
	ds_load_b64 v[9:10], v0
	s_wait_dscnt 0x0
	global_inv scope:SCOPE_SE
	v_add_co_u32 v12, vcc_lo, v12, v81
	s_wait_alu 0xfffd
	v_add_co_ci_u32_e64 v13, null, 0, v13, vcc_lo
	s_mov_b32 s16, exec_lo
	v_cmpx_lt_u64_e64 v[9:10], v[12:13]
	s_cbranch_execz .LBB2_665
; %bb.657:                              ;   in Loop: Header=BB2_495 Depth=2
	s_mov_b32 s17, 0
	s_mov_b32 s20, 0
                                        ; implicit-def: $sgpr18
                                        ; implicit-def: $sgpr19
	s_branch .LBB2_659
.LBB2_658:                              ;   in Loop: Header=BB2_659 Depth=3
	s_wait_alu 0xfffe
	s_or_b32 exec_lo, exec_lo, s22
	s_delay_alu instid0(SALU_CYCLE_1)
	s_and_b32 s21, exec_lo, s23
	s_wait_alu 0xfffe
	s_or_b32 s17, s21, s17
	s_and_not1_b32 s18, s18, exec_lo
	s_and_b32 s21, s19, exec_lo
	s_wait_alu 0xfffe
	s_or_b32 s18, s18, s21
	s_and_not1_b32 exec_lo, exec_lo, s17
	s_cbranch_execz .LBB2_663
.LBB2_659:                              ;   Parent Loop BB2_47 Depth=1
                                        ;     Parent Loop BB2_495 Depth=2
                                        ; =>    This Inner Loop Header: Depth=3
	s_wait_alu 0xfffe
	s_add_co_i32 s20, s20, 1
	s_wait_alu 0xfffe
	s_cmp_lg_u32 s20, 0x2710
	s_cselect_b32 s21, -1, 0
	s_wait_alu 0xfffe
	s_and_b32 vcc_lo, exec_lo, s21
	s_wait_alu 0xfffe
	s_cbranch_vccz .LBB2_661
; %bb.660:                              ;   in Loop: Header=BB2_659 Depth=3
	s_mov_b32 s23, -1
	s_or_b32 s19, s19, exec_lo
	s_and_saveexec_b32 s22, s21
	s_cbranch_execz .LBB2_658
	s_branch .LBB2_662
.LBB2_661:                              ;   in Loop: Header=BB2_659 Depth=3
	s_trap 2
	ds_load_b64 v[9:10], v0
	s_and_not1_b32 s21, s21, exec_lo
	s_mov_b32 s20, 0
	s_wait_storecnt 0x0
	s_wait_loadcnt_dscnt 0x0
	flat_load_b32 v9, v[9:10] scope:SCOPE_SYS
	s_wait_loadcnt_dscnt 0x0
	global_inv scope:SCOPE_SYS
	v_cmp_eq_u32_e32 vcc_lo, 0, v9
	s_and_b32 s22, vcc_lo, exec_lo
	s_wait_alu 0xfffe
	s_or_b32 s21, s21, s22
	s_mov_b32 s23, -1
	s_or_b32 s19, s19, exec_lo
	s_wait_alu 0xfffe
	s_and_saveexec_b32 s22, s21
	s_cbranch_execz .LBB2_658
.LBB2_662:                              ;   in Loop: Header=BB2_659 Depth=3
	s_sleep 1
	s_trap 2
	ds_load_b64 v[9:10], v0
	s_wait_dscnt 0x0
	global_inv scope:SCOPE_SE
	s_wait_alu 0xfffe
	s_and_not1_b32 s19, s19, exec_lo
	v_cmp_ge_u64_e32 vcc_lo, v[9:10], v[12:13]
	s_or_not1_b32 s23, vcc_lo, exec_lo
	s_branch .LBB2_658
.LBB2_663:                              ;   in Loop: Header=BB2_495 Depth=2
	s_or_b32 exec_lo, exec_lo, s17
	s_wait_alu 0xfffe
	s_and_saveexec_b32 s17, s18
	s_wait_alu 0xfffe
	s_xor_b32 s17, exec_lo, s17
	s_cbranch_execz .LBB2_665
; %bb.664:                              ;   in Loop: Header=BB2_495 Depth=2
	ds_store_b32 v0, v84
	s_trap 2
.LBB2_665:                              ;   in Loop: Header=BB2_495 Depth=2
	s_wait_alu 0xfffe
	s_or_b32 exec_lo, exec_lo, s16
	;;#ASMSTART
	s_wakeup
	;;#ASMEND
.LBB2_666:                              ;   in Loop: Header=BB2_495 Depth=2
	s_wait_alu 0xfffe
	s_or_b32 exec_lo, exec_lo, s15
.LBB2_667:                              ;   in Loop: Header=BB2_495 Depth=2
	s_wait_alu 0xfffe
	s_and_not1_saveexec_b32 s14, s14
	s_cbranch_execz .LBB2_669
; %bb.668:                              ;   in Loop: Header=BB2_495 Depth=2
	;;#ASMSTART
	s_waitcnt lgkmcnt(0) vmcnt(0)
	;;#ASMEND
	s_barrier_signal -1
	s_barrier_wait -1
.LBB2_669:                              ;   in Loop: Header=BB2_495 Depth=2
	s_wait_alu 0xfffe
	s_or_b32 exec_lo, exec_lo, s14
.LBB2_670:                              ;   in Loop: Header=BB2_495 Depth=2
	s_wait_alu 0xfffe
	s_or_b32 exec_lo, exec_lo, s13
	v_cmp_ne_u32_e32 vcc_lo, 0, v8
	s_xor_b32 s13, s4, -1
	s_wait_alu 0xfffe
	s_and_b32 s14, vcc_lo, s13
	s_wait_alu 0xfffe
	s_and_saveexec_b32 s13, s14
	s_cbranch_execz .LBB2_672
; %bb.671:                              ;   in Loop: Header=BB2_495 Depth=2
	global_wb scope:SCOPE_SYS
	s_wait_storecnt 0x0
	s_wait_loadcnt_dscnt 0x0
	flat_store_b32 v[24:25], v84 scope:SCOPE_SYS
.LBB2_672:                              ;   in Loop: Header=BB2_495 Depth=2
	s_wait_alu 0xfffe
	s_or_b32 exec_lo, exec_lo, s13
	v_and_b32_e32 v8, 48, v70
	s_mov_b32 s13, exec_lo
	s_delay_alu instid0(VALU_DEP_1)
	v_cmpx_ne_u32_e32 0, v8
	s_cbranch_execz .LBB2_494
; %bb.673:                              ;   in Loop: Header=BB2_495 Depth=2
	v_add_co_u32 v38, vcc_lo, v38, 2
	s_wait_alu 0xfffd
	v_add_co_ci_u32_e64 v39, null, 0, v39, vcc_lo
	global_wb scope:SCOPE_SYS
	s_wait_storecnt 0x0
	s_wait_loadcnt_dscnt 0x0
	flat_store_b64 v[20:21], v[38:39] scope:SCOPE_SYS
	s_branch .LBB2_494
.LBB2_674:                              ;   in Loop: Header=BB2_47 Depth=1
	s_or_b32 exec_lo, exec_lo, s47
.LBB2_675:                              ;   in Loop: Header=BB2_47 Depth=1
	s_wait_alu 0xfffe
	s_or_b32 exec_lo, exec_lo, s42
	s_delay_alu instid0(SALU_CYCLE_1)
	s_mov_b32 s14, exec_lo
	v_cmpx_gt_i32_e32 2, v10
	s_cbranch_execz .LBB2_751
; %bb.676:                              ;   in Loop: Header=BB2_47 Depth=1
	v_cmp_eq_u32_e64 s16, 0, v10
	s_mov_b32 s15, 0
	s_branch .LBB2_678
.LBB2_677:                              ;   in Loop: Header=BB2_678 Depth=2
	s_wait_alu 0xfffe
	s_or_b32 exec_lo, exec_lo, s13
	v_add_nc_u32_e32 v55, v50, v55
	s_mov_b32 s16, 0
	s_and_not1_b32 exec_lo, exec_lo, s15
	s_cbranch_execz .LBB2_750
.LBB2_678:                              ;   Parent Loop BB2_47 Depth=1
                                        ; =>  This Loop Header: Depth=2
                                        ;       Child Loop BB2_684 Depth 3
                                        ;       Child Loop BB2_712 Depth 3
	;; [unrolled: 1-line block ×3, first 2 shown]
	s_delay_alu instid0(VALU_DEP_1) | instskip(SKIP_2) | instid1(VALU_DEP_2)
	v_sub_nc_u32_e32 v8, v3, v55
	v_and_b32_e32 v9, 12, v70
	s_mov_b32 s17, exec_lo
	v_min_i32_e32 v50, v50, v8
	s_delay_alu instid0(VALU_DEP_2)
	v_cmpx_ne_u32_e32 0, v9
	s_cbranch_execz .LBB2_704
; %bb.679:                              ;   in Loop: Header=BB2_678 Depth=2
	v_and_b32_e32 v53, 8, v70
	s_mov_b32 s18, exec_lo
	s_delay_alu instid0(VALU_DEP_1)
	v_add_co_u32 v10, vcc_lo, v26, v53
	s_wait_alu 0xfffd
	v_add_co_ci_u32_e64 v11, null, 0, v27, vcc_lo
	v_add_co_u32 v8, vcc_lo, v38, 2
	s_wait_alu 0xfffd
	v_add_co_ci_u32_e64 v9, null, 0, v39, vcc_lo
	s_delay_alu instid0(VALU_DEP_1)
	v_cmpx_lt_u64_e64 v[10:11], v[8:9]
	s_cbranch_execz .LBB2_691
; %bb.680:                              ;   in Loop: Header=BB2_678 Depth=2
	v_and_b32_e32 v10, 64, v70
	s_mov_b32 s19, 0
	s_mov_b32 s23, 0
                                        ; implicit-def: $sgpr20
                                        ; implicit-def: $sgpr21
                                        ; implicit-def: $sgpr22
	s_delay_alu instid0(VALU_DEP_1)
	v_cmp_eq_u32_e32 vcc_lo, 0, v10
	s_branch .LBB2_684
.LBB2_681:                              ;   in Loop: Header=BB2_684 Depth=3
	v_add_co_u32 v51, s13, v26, v53
	s_wait_alu 0xf1ff
	v_add_co_ci_u32_e64 v52, null, 0, v27, s13
	s_or_b32 s26, s26, exec_lo
	v_cmp_ge_u64_e64 s13, v[51:52], v[8:9]
	s_or_not1_b32 s25, s13, exec_lo
.LBB2_682:                              ;   in Loop: Header=BB2_684 Depth=3
	s_wait_alu 0xfffe
	s_or_b32 exec_lo, exec_lo, s28
	s_delay_alu instid0(SALU_CYCLE_1)
	s_and_not1_b32 s13, s22, exec_lo
	s_and_b32 s22, s26, exec_lo
	s_and_not1_b32 s21, s21, exec_lo
	s_and_b32 s25, s25, exec_lo
	s_wait_alu 0xfffe
	s_or_b32 s22, s13, s22
	s_or_b32 s21, s21, s25
.LBB2_683:                              ;   in Loop: Header=BB2_684 Depth=3
	s_wait_alu 0xfffe
	s_or_b32 exec_lo, exec_lo, s24
	s_delay_alu instid0(SALU_CYCLE_1)
	s_and_b32 s13, exec_lo, s21
	s_wait_alu 0xfffe
	s_or_b32 s19, s13, s19
	s_and_not1_b32 s13, s20, exec_lo
	s_and_b32 s20, s22, exec_lo
	s_wait_alu 0xfffe
	s_or_b32 s20, s13, s20
	s_and_not1_b32 exec_lo, exec_lo, s19
	s_cbranch_execz .LBB2_688
.LBB2_684:                              ;   Parent Loop BB2_47 Depth=1
                                        ;     Parent Loop BB2_678 Depth=2
                                        ; =>    This Inner Loop Header: Depth=3
	s_sleep 1
	flat_load_b64 v[26:27], v[20:21] scope:SCOPE_SYS
	s_wait_loadcnt_dscnt 0x0
	global_inv scope:SCOPE_SYS
	s_or_b32 s22, s22, exec_lo
	s_or_b32 s21, s21, exec_lo
                                        ; implicit-def: $vgpr10
	s_and_saveexec_b32 s24, vcc_lo
	s_cbranch_execz .LBB2_683
; %bb.685:                              ;   in Loop: Header=BB2_684 Depth=3
	s_wait_alu 0xfffe
	s_cmp_lt_i32 s23, 0x270f
	s_mov_b32 s25, -1
	s_cselect_b32 s27, -1, 0
	s_cmp_gt_i32 s23, 0x270e
	s_cbranch_scc0 .LBB2_687
; %bb.686:                              ;   in Loop: Header=BB2_684 Depth=3
	s_trap 2
	ds_load_b64 v[10:11], v0
	s_wait_alu 0xfffe
	s_and_not1_b32 s23, s27, exec_lo
	s_mov_b32 s26, 0
	s_wait_storecnt 0x0
	s_wait_loadcnt_dscnt 0x0
	flat_load_b32 v10, v[10:11] scope:SCOPE_SYS
	s_wait_loadcnt_dscnt 0x0
	global_inv scope:SCOPE_SYS
	v_cmp_eq_u32_e64 s13, 0, v10
	s_and_b32 s13, s13, exec_lo
	s_wait_alu 0xfffe
	s_or_b32 s27, s23, s13
	s_mov_b32 s23, 0
	s_wait_alu 0xfffe
	s_and_saveexec_b32 s28, s27
	s_cbranch_execz .LBB2_682
	s_branch .LBB2_681
.LBB2_687:                              ;   in Loop: Header=BB2_684 Depth=3
	s_add_co_i32 s23, s23, 1
	s_mov_b32 s26, -1
                                        ; implicit-def: $vgpr10
	s_wait_alu 0xfffe
	s_and_saveexec_b32 s28, s27
	s_cbranch_execz .LBB2_682
	s_branch .LBB2_681
.LBB2_688:                              ;   in Loop: Header=BB2_678 Depth=2
	s_or_b32 exec_lo, exec_lo, s19
	s_wait_alu 0xfffe
	s_xor_b32 s13, s20, -1
	s_wait_alu 0xfffe
	s_and_saveexec_b32 s19, s13
	s_wait_alu 0xfffe
	s_xor_b32 s13, exec_lo, s19
	s_cbranch_execz .LBB2_690
; %bb.689:                              ;   in Loop: Header=BB2_678 Depth=2
	v_or_b32_e32 v70, 64, v70
	s_wait_loadcnt 0x0
	s_wait_storecnt 0x0
	ds_store_b32 v0, v10
	s_trap 2
.LBB2_690:                              ;   in Loop: Header=BB2_678 Depth=2
	s_wait_alu 0xfffe
	s_or_b32 exec_lo, exec_lo, s13
.LBB2_691:                              ;   in Loop: Header=BB2_678 Depth=2
	s_wait_alu 0xfffe
	s_or_b32 exec_lo, exec_lo, s18
	v_and_b32_e32 v10, 0x108, v70
	;;#ASMSTART
	s_wakeup
	;;#ASMEND
	s_delay_alu instid0(VALU_DEP_1)
	v_cmp_ne_u32_e32 vcc_lo, 0x108, v10
                                        ; implicit-def: $vgpr10_vgpr11
	s_and_saveexec_b32 s13, vcc_lo
	s_wait_alu 0xfffe
	s_xor_b32 s13, exec_lo, s13
; %bb.692:                              ;   in Loop: Header=BB2_678 Depth=2
	v_dual_mov_b32 v11, v2 :: v_dual_and_b32 v10, 7, v38
                                        ; implicit-def: $vgpr38_vgpr39
; %bb.693:                              ;   in Loop: Header=BB2_678 Depth=2
	s_wait_alu 0xfffe
	s_and_not1_saveexec_b32 s13, s13
	s_cbranch_execz .LBB2_695
; %bb.694:                              ;   in Loop: Header=BB2_678 Depth=2
	v_dual_mov_b32 v11, v2 :: v_dual_and_b32 v10, 7, v38
	v_ashrrev_i32_e32 v51, 31, v50
	s_delay_alu instid0(VALU_DEP_2)
	v_mad_co_u64_u32 v[38:39], null, v10, 24, v[6:7]
	flat_store_b64 v[38:39], v[50:51] offset:8
.LBB2_695:                              ;   in Loop: Header=BB2_678 Depth=2
	s_wait_alu 0xfffe
	s_or_b32 exec_lo, exec_lo, s13
	v_and_b32_e32 v38, 0x100, v70
	s_mov_b32 s13, -1
	s_delay_alu instid0(VALU_DEP_1)
	v_cmp_ne_u32_e32 vcc_lo, 0, v38
                                        ; implicit-def: $vgpr38_vgpr39
	s_and_saveexec_b32 s18, vcc_lo
	s_cbranch_execz .LBB2_699
; %bb.696:                              ;   in Loop: Header=BB2_678 Depth=2
	v_mad_co_u64_u32 v[51:52], null, v10, 24, v[6:7]
	s_delay_alu instid0(VALU_DEP_1) | instskip(NEXT) | instid1(VALU_DEP_1)
	v_mov_b32_e32 v38, v52
	v_mad_co_u64_u32 v[38:39], null, v11, 24, v[38:39]
	s_delay_alu instid0(VALU_DEP_1)
	v_mov_b32_e32 v52, v38
	flat_load_b32 v38, v[51:52]
	s_wait_loadcnt_dscnt 0x0
	v_cmp_eq_u32_e64 s13, 1, v38
	v_cmp_ne_u32_e32 vcc_lo, 1, v38
                                        ; implicit-def: $vgpr38_vgpr39
	s_wait_alu 0xfffe
	s_and_saveexec_b32 s19, s13
	s_cbranch_execz .LBB2_698
; %bb.697:                              ;   in Loop: Header=BB2_678 Depth=2
	flat_load_b32 v38, v[51:52] offset:4 scope:SCOPE_SYS
	s_wait_loadcnt_dscnt 0x0
	v_ashrrev_i32_e32 v39, 31, v38
.LBB2_698:                              ;   in Loop: Header=BB2_678 Depth=2
	s_wait_alu 0xfffe
	s_or_b32 exec_lo, exec_lo, s19
	s_delay_alu instid0(SALU_CYCLE_1)
	s_or_not1_b32 s13, vcc_lo, exec_lo
.LBB2_699:                              ;   in Loop: Header=BB2_678 Depth=2
	s_wait_alu 0xfffe
	s_or_b32 exec_lo, exec_lo, s18
	s_and_saveexec_b32 s18, s13
; %bb.700:                              ;   in Loop: Header=BB2_678 Depth=2
	v_mul_lo_u32 v11, v11, v71
	v_mul_lo_u32 v51, v10, v80
	v_mad_co_u64_u32 v[38:39], null, v10, v71, 0
	s_delay_alu instid0(VALU_DEP_1)
	v_add3_u32 v39, v39, v51, v11
; %bb.701:                              ;   in Loop: Header=BB2_678 Depth=2
	s_wait_alu 0xfffe
	s_or_b32 exec_lo, exec_lo, s18
	v_cmp_eq_u32_e32 vcc_lo, 0, v53
	v_and_b32_e32 v52, 0x2000, v70
	s_mov_b32 s13, exec_lo
	s_wait_alu 0xfffd
	v_cndmask_b32_e32 v51, 0xd0, v85, vcc_lo
	v_add_co_u32 v10, vcc_lo, v22, v38
	s_wait_alu 0xfffd
	v_add_co_ci_u32_e64 v11, null, v23, v39, vcc_lo
	s_delay_alu instid0(VALU_DEP_3)
	v_add_nc_u32_e32 v38, v0, v51
	ds_store_b64 v38, v[10:11] offset:584
	v_cmpx_ne_u32_e32 0, v52
	s_cbranch_execz .LBB2_703
; %bb.702:                              ;   in Loop: Header=BB2_678 Depth=2
	ds_load_b64 v[10:11], v0 offset:872
	s_wait_dscnt 0x0
	v_add_co_u32 v10, vcc_lo, v10, 1
	s_wait_alu 0xfffd
	v_add_co_ci_u32_e64 v11, null, 0, v11, vcc_lo
	ds_store_b64 v0, v[10:11] offset:872
.LBB2_703:                              ;   in Loop: Header=BB2_678 Depth=2
	s_wait_alu 0xfffe
	s_or_b32 exec_lo, exec_lo, s13
	v_dual_mov_b32 v39, v9 :: v_dual_mov_b32 v38, v8
.LBB2_704:                              ;   in Loop: Header=BB2_678 Depth=2
	s_wait_alu 0xfffe
	s_or_b32 exec_lo, exec_lo, s17
	s_xor_b32 s13, s16, -1
	s_wait_alu 0xfffe
	s_and_b32 s13, exec_lo, s13
	s_wait_alu 0xfffe
	s_or_b32 s15, s13, s15
	s_and_saveexec_b32 s13, s2
	s_cbranch_execz .LBB2_723
; %bb.705:                              ;   in Loop: Header=BB2_678 Depth=2
	s_and_saveexec_b32 s16, s3
	s_wait_alu 0xfffe
	s_xor_b32 s16, exec_lo, s16
	s_cbranch_execz .LBB2_720
; %bb.706:                              ;   in Loop: Header=BB2_678 Depth=2
	s_and_saveexec_b32 s17, s6
	s_cbranch_execz .LBB2_719
; %bb.707:                              ;   in Loop: Header=BB2_678 Depth=2
	s_mov_b32 s19, exec_lo
	s_mov_b32 s18, exec_lo
	s_wait_alu 0xfffe
	v_mbcnt_lo_u32_b32 v8, s19, 0
	s_wait_storecnt 0x0
	s_wait_loadcnt_dscnt 0x0
	global_inv scope:SCOPE_DEV
	v_cmpx_eq_u32_e32 0, v8
	s_cbranch_execz .LBB2_709
; %bb.708:                              ;   in Loop: Header=BB2_678 Depth=2
	s_bcnt1_i32_b32 s19, s19
	s_wait_alu 0xfffe
	v_dual_mov_b32 v9, v2 :: v_dual_mov_b32 v8, s19
	s_wait_loadcnt 0x0
	ds_add_u64 v0, v[8:9]
	s_trap 2
.LBB2_709:                              ;   in Loop: Header=BB2_678 Depth=2
	s_or_b32 exec_lo, exec_lo, s18
	s_trap 2
	ds_load_b64 v[8:9], v0
	s_wait_dscnt 0x0
	global_inv scope:SCOPE_SE
	v_add_co_u32 v12, vcc_lo, v12, v81
	s_wait_alu 0xfffd
	v_add_co_ci_u32_e64 v13, null, 0, v13, vcc_lo
	s_mov_b32 s18, exec_lo
	v_cmpx_lt_u64_e64 v[8:9], v[12:13]
	s_cbranch_execz .LBB2_718
; %bb.710:                              ;   in Loop: Header=BB2_678 Depth=2
	s_mov_b32 s19, 0
	s_mov_b32 s22, 0
                                        ; implicit-def: $sgpr20
                                        ; implicit-def: $sgpr21
	s_branch .LBB2_712
.LBB2_711:                              ;   in Loop: Header=BB2_712 Depth=3
	s_wait_alu 0xfffe
	s_or_b32 exec_lo, exec_lo, s24
	s_delay_alu instid0(SALU_CYCLE_1)
	s_and_b32 s23, exec_lo, s25
	s_wait_alu 0xfffe
	s_or_b32 s19, s23, s19
	s_and_not1_b32 s20, s20, exec_lo
	s_and_b32 s23, s21, exec_lo
	s_wait_alu 0xfffe
	s_or_b32 s20, s20, s23
	s_and_not1_b32 exec_lo, exec_lo, s19
	s_cbranch_execz .LBB2_716
.LBB2_712:                              ;   Parent Loop BB2_47 Depth=1
                                        ;     Parent Loop BB2_678 Depth=2
                                        ; =>    This Inner Loop Header: Depth=3
	s_wait_alu 0xfffe
	s_add_co_i32 s22, s22, 1
	s_wait_alu 0xfffe
	s_cmp_lg_u32 s22, 0x2710
	s_cselect_b32 s23, -1, 0
	s_wait_alu 0xfffe
	s_and_b32 vcc_lo, exec_lo, s23
	s_wait_alu 0xfffe
	s_cbranch_vccz .LBB2_714
; %bb.713:                              ;   in Loop: Header=BB2_712 Depth=3
	s_mov_b32 s25, -1
	s_or_b32 s21, s21, exec_lo
	s_and_saveexec_b32 s24, s23
	s_cbranch_execz .LBB2_711
	s_branch .LBB2_715
.LBB2_714:                              ;   in Loop: Header=BB2_712 Depth=3
	s_trap 2
	ds_load_b64 v[8:9], v0
	s_and_not1_b32 s23, s23, exec_lo
	s_mov_b32 s22, 0
	s_wait_loadcnt_dscnt 0x0
	flat_load_b32 v8, v[8:9] scope:SCOPE_SYS
	s_wait_loadcnt_dscnt 0x0
	global_inv scope:SCOPE_SYS
	v_cmp_eq_u32_e32 vcc_lo, 0, v8
	s_and_b32 s24, vcc_lo, exec_lo
	s_wait_alu 0xfffe
	s_or_b32 s23, s23, s24
	s_mov_b32 s25, -1
	s_or_b32 s21, s21, exec_lo
	s_wait_alu 0xfffe
	s_and_saveexec_b32 s24, s23
	s_cbranch_execz .LBB2_711
.LBB2_715:                              ;   in Loop: Header=BB2_712 Depth=3
	s_sleep 1
	s_trap 2
	ds_load_b64 v[8:9], v0
	s_wait_dscnt 0x0
	global_inv scope:SCOPE_SE
	s_wait_alu 0xfffe
	s_and_not1_b32 s21, s21, exec_lo
	v_cmp_ge_u64_e32 vcc_lo, v[8:9], v[12:13]
	s_or_not1_b32 s25, vcc_lo, exec_lo
	s_branch .LBB2_711
.LBB2_716:                              ;   in Loop: Header=BB2_678 Depth=2
	s_or_b32 exec_lo, exec_lo, s19
	s_wait_alu 0xfffe
	s_and_saveexec_b32 s19, s20
	s_wait_alu 0xfffe
	s_xor_b32 s19, exec_lo, s19
	s_cbranch_execz .LBB2_718
; %bb.717:                              ;   in Loop: Header=BB2_678 Depth=2
	ds_store_b32 v0, v84
	s_trap 2
.LBB2_718:                              ;   in Loop: Header=BB2_678 Depth=2
	s_wait_alu 0xfffe
	s_or_b32 exec_lo, exec_lo, s18
	;;#ASMSTART
	s_wakeup
	;;#ASMEND
.LBB2_719:                              ;   in Loop: Header=BB2_678 Depth=2
	s_wait_alu 0xfffe
	s_or_b32 exec_lo, exec_lo, s17
.LBB2_720:                              ;   in Loop: Header=BB2_678 Depth=2
	s_wait_alu 0xfffe
	s_and_not1_saveexec_b32 s16, s16
	s_cbranch_execz .LBB2_722
; %bb.721:                              ;   in Loop: Header=BB2_678 Depth=2
	s_wait_storecnt 0x0
	s_wait_loadcnt_dscnt 0x0
	global_inv scope:SCOPE_DEV
	s_barrier_signal -1
	s_barrier_wait -1
.LBB2_722:                              ;   in Loop: Header=BB2_678 Depth=2
	s_wait_alu 0xfffe
	s_or_b32 exec_lo, exec_lo, s16
.LBB2_723:                              ;   in Loop: Header=BB2_678 Depth=2
	s_wait_alu 0xfffe
	s_or_b32 exec_lo, exec_lo, s13
	v_and_b32_e32 v8, 16, v70
	s_and_saveexec_b32 s13, s7
	s_wait_alu 0xfffe
	s_xor_b32 s16, exec_lo, s13
	s_cbranch_execz .LBB2_727
; %bb.724:                              ;   in Loop: Header=BB2_678 Depth=2
	s_trap 2
	ds_load_b32 v8, v0
	v_cmp_lt_i32_e32 vcc_lo, 0, v50
	s_wait_dscnt 0x0
	v_readfirstlane_b32 s13, v8
	v_and_b32_e32 v8, 16, v70
	s_cmp_eq_u32 s13, 0
	s_delay_alu instid0(VALU_DEP_1)
	v_cmp_ne_u32_e64 s13, 0, v8
	s_cselect_b32 s17, -1, 0
	v_and_b32_e32 v8, 16, v70
	s_wait_alu 0xfffe
	s_and_b32 s17, vcc_lo, s17
	s_wait_alu 0xfffe
	s_and_b32 s17, s13, s17
	s_wait_alu 0xfffe
	s_and_saveexec_b32 s13, s17
	s_cbranch_execz .LBB2_726
; %bb.725:                              ;   in Loop: Header=BB2_678 Depth=2
	v_mov_b32_e32 v8, 1
	global_wb scope:SCOPE_SYS
	s_wait_loadcnt 0x0
	s_wait_storecnt 0x0
	global_inv scope:SCOPE_SYS
.LBB2_726:                              ;   in Loop: Header=BB2_678 Depth=2
	s_wait_alu 0xfffe
	s_or_b32 exec_lo, exec_lo, s13
.LBB2_727:                              ;   in Loop: Header=BB2_678 Depth=2
	s_wait_alu 0xfffe
	s_and_not1_saveexec_b32 s13, s16
	s_cbranch_execz .LBB2_746
; %bb.728:                              ;   in Loop: Header=BB2_678 Depth=2
	s_and_saveexec_b32 s16, s3
	s_wait_alu 0xfffe
	s_xor_b32 s16, exec_lo, s16
	s_cbranch_execz .LBB2_743
; %bb.729:                              ;   in Loop: Header=BB2_678 Depth=2
	s_and_saveexec_b32 s17, s6
	s_cbranch_execz .LBB2_742
; %bb.730:                              ;   in Loop: Header=BB2_678 Depth=2
	s_mov_b32 s19, exec_lo
	s_mov_b32 s18, exec_lo
	s_wait_alu 0xfffe
	v_mbcnt_lo_u32_b32 v9, s19, 0
	;;#ASMSTART
	s_waitcnt lgkmcnt(0) vmcnt(0)
	;;#ASMEND
	s_delay_alu instid0(VALU_DEP_1)
	v_cmpx_eq_u32_e32 0, v9
	s_cbranch_execz .LBB2_732
; %bb.731:                              ;   in Loop: Header=BB2_678 Depth=2
	s_bcnt1_i32_b32 s19, s19
	s_wait_alu 0xfffe
	v_dual_mov_b32 v10, v2 :: v_dual_mov_b32 v9, s19
	s_wait_storecnt 0x0
	s_wait_loadcnt_dscnt 0x0
	ds_add_u64 v0, v[9:10]
	s_trap 2
.LBB2_732:                              ;   in Loop: Header=BB2_678 Depth=2
	s_or_b32 exec_lo, exec_lo, s18
	s_trap 2
	ds_load_b64 v[9:10], v0
	s_wait_dscnt 0x0
	global_inv scope:SCOPE_SE
	v_add_co_u32 v12, vcc_lo, v12, v81
	s_wait_alu 0xfffd
	v_add_co_ci_u32_e64 v13, null, 0, v13, vcc_lo
	s_mov_b32 s18, exec_lo
	v_cmpx_lt_u64_e64 v[9:10], v[12:13]
	s_cbranch_execz .LBB2_741
; %bb.733:                              ;   in Loop: Header=BB2_678 Depth=2
	s_mov_b32 s19, 0
	s_mov_b32 s22, 0
                                        ; implicit-def: $sgpr20
                                        ; implicit-def: $sgpr21
	s_branch .LBB2_735
.LBB2_734:                              ;   in Loop: Header=BB2_735 Depth=3
	s_wait_alu 0xfffe
	s_or_b32 exec_lo, exec_lo, s24
	s_delay_alu instid0(SALU_CYCLE_1)
	s_and_b32 s23, exec_lo, s25
	s_wait_alu 0xfffe
	s_or_b32 s19, s23, s19
	s_and_not1_b32 s20, s20, exec_lo
	s_and_b32 s23, s21, exec_lo
	s_wait_alu 0xfffe
	s_or_b32 s20, s20, s23
	s_and_not1_b32 exec_lo, exec_lo, s19
	s_cbranch_execz .LBB2_739
.LBB2_735:                              ;   Parent Loop BB2_47 Depth=1
                                        ;     Parent Loop BB2_678 Depth=2
                                        ; =>    This Inner Loop Header: Depth=3
	s_wait_alu 0xfffe
	s_add_co_i32 s22, s22, 1
	s_wait_alu 0xfffe
	s_cmp_lg_u32 s22, 0x2710
	s_cselect_b32 s23, -1, 0
	s_wait_alu 0xfffe
	s_and_b32 vcc_lo, exec_lo, s23
	s_wait_alu 0xfffe
	s_cbranch_vccz .LBB2_737
; %bb.736:                              ;   in Loop: Header=BB2_735 Depth=3
	s_mov_b32 s25, -1
	s_or_b32 s21, s21, exec_lo
	s_and_saveexec_b32 s24, s23
	s_cbranch_execz .LBB2_734
	s_branch .LBB2_738
.LBB2_737:                              ;   in Loop: Header=BB2_735 Depth=3
	s_trap 2
	ds_load_b64 v[9:10], v0
	s_and_not1_b32 s23, s23, exec_lo
	s_mov_b32 s22, 0
	s_wait_storecnt 0x0
	s_wait_loadcnt_dscnt 0x0
	flat_load_b32 v9, v[9:10] scope:SCOPE_SYS
	s_wait_loadcnt_dscnt 0x0
	global_inv scope:SCOPE_SYS
	v_cmp_eq_u32_e32 vcc_lo, 0, v9
	s_and_b32 s24, vcc_lo, exec_lo
	s_wait_alu 0xfffe
	s_or_b32 s23, s23, s24
	s_mov_b32 s25, -1
	s_or_b32 s21, s21, exec_lo
	s_wait_alu 0xfffe
	s_and_saveexec_b32 s24, s23
	s_cbranch_execz .LBB2_734
.LBB2_738:                              ;   in Loop: Header=BB2_735 Depth=3
	s_sleep 1
	s_trap 2
	ds_load_b64 v[9:10], v0
	s_wait_dscnt 0x0
	global_inv scope:SCOPE_SE
	s_wait_alu 0xfffe
	s_and_not1_b32 s21, s21, exec_lo
	v_cmp_ge_u64_e32 vcc_lo, v[9:10], v[12:13]
	s_or_not1_b32 s25, vcc_lo, exec_lo
	s_branch .LBB2_734
.LBB2_739:                              ;   in Loop: Header=BB2_678 Depth=2
	s_or_b32 exec_lo, exec_lo, s19
	s_wait_alu 0xfffe
	s_and_saveexec_b32 s19, s20
	s_wait_alu 0xfffe
	s_xor_b32 s19, exec_lo, s19
	s_cbranch_execz .LBB2_741
; %bb.740:                              ;   in Loop: Header=BB2_678 Depth=2
	ds_store_b32 v0, v84
	s_trap 2
.LBB2_741:                              ;   in Loop: Header=BB2_678 Depth=2
	s_wait_alu 0xfffe
	s_or_b32 exec_lo, exec_lo, s18
	;;#ASMSTART
	s_wakeup
	;;#ASMEND
.LBB2_742:                              ;   in Loop: Header=BB2_678 Depth=2
	s_wait_alu 0xfffe
	s_or_b32 exec_lo, exec_lo, s17
.LBB2_743:                              ;   in Loop: Header=BB2_678 Depth=2
	s_wait_alu 0xfffe
	s_and_not1_saveexec_b32 s16, s16
	s_cbranch_execz .LBB2_745
; %bb.744:                              ;   in Loop: Header=BB2_678 Depth=2
	;;#ASMSTART
	s_waitcnt lgkmcnt(0) vmcnt(0)
	;;#ASMEND
	s_barrier_signal -1
	s_barrier_wait -1
.LBB2_745:                              ;   in Loop: Header=BB2_678 Depth=2
	s_wait_alu 0xfffe
	s_or_b32 exec_lo, exec_lo, s16
.LBB2_746:                              ;   in Loop: Header=BB2_678 Depth=2
	s_wait_alu 0xfffe
	s_or_b32 exec_lo, exec_lo, s13
	v_cmp_ne_u32_e32 vcc_lo, 0, v8
	s_xor_b32 s13, s4, -1
	s_wait_alu 0xfffe
	s_and_b32 s16, vcc_lo, s13
	s_wait_alu 0xfffe
	s_and_saveexec_b32 s13, s16
	s_cbranch_execz .LBB2_748
; %bb.747:                              ;   in Loop: Header=BB2_678 Depth=2
	global_wb scope:SCOPE_SYS
	s_wait_storecnt 0x0
	s_wait_loadcnt_dscnt 0x0
	flat_store_b32 v[24:25], v84 scope:SCOPE_SYS
.LBB2_748:                              ;   in Loop: Header=BB2_678 Depth=2
	s_wait_alu 0xfffe
	s_or_b32 exec_lo, exec_lo, s13
	v_and_b32_e32 v8, 48, v70
	s_mov_b32 s13, exec_lo
	s_delay_alu instid0(VALU_DEP_1)
	v_cmpx_ne_u32_e32 0, v8
	s_cbranch_execz .LBB2_677
; %bb.749:                              ;   in Loop: Header=BB2_678 Depth=2
	v_add_co_u32 v38, vcc_lo, v38, 2
	s_wait_alu 0xfffd
	v_add_co_ci_u32_e64 v39, null, 0, v39, vcc_lo
	global_wb scope:SCOPE_SYS
	s_wait_storecnt 0x0
	s_wait_loadcnt_dscnt 0x0
	flat_store_b64 v[20:21], v[38:39] scope:SCOPE_SYS
	s_branch .LBB2_677
.LBB2_750:                              ;   in Loop: Header=BB2_47 Depth=1
	s_or_b32 exec_lo, exec_lo, s15
.LBB2_751:                              ;   in Loop: Header=BB2_47 Depth=1
	s_wait_alu 0xfffe
	s_or_b32 exec_lo, exec_lo, s14
	s_delay_alu instid0(SALU_CYCLE_1)
	s_and_not1_b32 vcc_lo, exec_lo, s63
	s_wait_alu 0xfffe
	s_cbranch_vccnz .LBB2_1014
; %bb.752:                              ;   in Loop: Header=BB2_47 Depth=1
	s_mov_b32 s18, 1
.LBB2_753:                              ;   Parent Loop BB2_47 Depth=1
                                        ; =>  This Loop Header: Depth=2
                                        ;       Child Loop BB2_756 Depth 3
                                        ;         Child Loop BB2_764 Depth 4
                                        ;         Child Loop BB2_792 Depth 4
	;; [unrolled: 1-line block ×4, first 2 shown]
                                        ;           Child Loop BB2_835 Depth 5
                                        ;         Child Loop BB2_841 Depth 4
                                        ;           Child Loop BB2_842 Depth 5
                                        ;         Child Loop BB2_851 Depth 4
                                        ;         Child Loop BB2_856 Depth 4
                                        ;           Child Loop BB2_857 Depth 5
                                        ;         Child Loop BB2_869 Depth 4
                                        ;         Child Loop BB2_874 Depth 4
	;; [unrolled: 1-line block ×6, first 2 shown]
                                        ;       Child Loop BB2_939 Depth 3
                                        ;         Child Loop BB2_945 Depth 4
                                        ;         Child Loop BB2_973 Depth 4
	;; [unrolled: 1-line block ×3, first 2 shown]
	s_wait_alu 0xfffe
	s_sub_co_i32 s13, s58, s18
	s_mov_b32 s20, 0
	s_wait_alu 0xfffe
	s_cmp_ge_i32 s13, s40
	v_mov_b32_e32 v55, 0
	s_cselect_b32 s14, s40, 0
	s_wait_alu 0xfffe
	s_sub_co_i32 s13, s13, s14
	s_wait_alu 0xfffe
	s_ashr_i32 s14, s13, 31
	v_mul_lo_u32 v3, v37, s13
	v_mad_co_u64_u32 v[8:9], null, v36, s13, 0
	s_wait_alu 0xfffe
	v_mul_lo_u32 v10, v36, s14
	s_delay_alu instid0(VALU_DEP_1) | instskip(NEXT) | instid1(VALU_DEP_3)
	v_add3_u32 v9, v9, v10, v3
	v_sub_co_u32 v10, vcc_lo, v48, v8
	s_wait_alu 0xfffd
	s_delay_alu instid0(VALU_DEP_2) | instskip(NEXT) | instid1(VALU_DEP_1)
	v_sub_co_ci_u32_e64 v11, null, v49, v9, vcc_lo
	v_cmp_lt_i64_e32 vcc_lo, v[36:37], v[10:11]
	s_wait_alu 0xfffd
	v_cndmask_b32_e32 v11, v10, v36, vcc_lo
	s_delay_alu instid0(VALU_DEP_1) | instskip(NEXT) | instid1(VALU_DEP_1)
	v_max_i32_e32 v3, 0, v11
	v_add_nc_u32_e32 v10, 31, v3
	v_cmp_lt_i32_e32 vcc_lo, 0, v11
	s_delay_alu instid0(VALU_DEP_2) | instskip(SKIP_1) | instid1(VALU_DEP_1)
	v_lshrrev_b32_e32 v10, 1, v10
	s_and_b32 s13, s74, vcc_lo
	v_and_b32_e32 v50, 0x3ffffff0, v10
	v_mov_b32_e32 v10, 0
	s_delay_alu instid0(VALU_DEP_2)
	v_max_i32_e32 v50, s62, v50
	s_wait_alu 0xfffe
	s_and_saveexec_b32 s19, s13
	s_cbranch_execz .LBB2_936
; %bb.754:                              ;   in Loop: Header=BB2_753 Depth=2
	v_add_co_u32 v68, vcc_lo, v8, v118
	s_wait_alu 0xfffd
	v_add_co_ci_u32_e64 v69, null, v9, v119, vcc_lo
	v_mov_b32_e32 v55, 0
	s_mov_b32 s22, 1
	s_mov_b32 s21, -1
	s_branch .LBB2_756
.LBB2_755:                              ;   in Loop: Header=BB2_756 Depth=3
	s_wait_alu 0xfffe
	s_or_b32 exec_lo, exec_lo, s13
	v_dual_mov_b32 v10, s22 :: v_dual_add_nc_u32 v55, v50, v55
	s_xor_b32 s13, s21, -1
	s_mov_b32 s21, 0
	s_mov_b32 s22, 2
	s_delay_alu instid0(VALU_DEP_1)
	v_cmp_ge_i32_e32 vcc_lo, v55, v3
	s_wait_alu 0xfffe
	s_or_b32 s13, s13, vcc_lo
	s_wait_alu 0xfffe
	s_and_b32 s13, exec_lo, s13
	s_wait_alu 0xfffe
	s_or_b32 s20, s13, s20
	s_wait_alu 0xfffe
	s_and_not1_b32 exec_lo, exec_lo, s20
	s_cbranch_execz .LBB2_935
.LBB2_756:                              ;   Parent Loop BB2_47 Depth=1
                                        ;     Parent Loop BB2_753 Depth=2
                                        ; =>    This Loop Header: Depth=3
                                        ;         Child Loop BB2_764 Depth 4
                                        ;         Child Loop BB2_792 Depth 4
                                        ;         Child Loop BB2_811 Depth 4
                                        ;         Child Loop BB2_834 Depth 4
                                        ;           Child Loop BB2_835 Depth 5
                                        ;         Child Loop BB2_841 Depth 4
                                        ;           Child Loop BB2_842 Depth 5
                                        ;         Child Loop BB2_851 Depth 4
                                        ;         Child Loop BB2_856 Depth 4
                                        ;           Child Loop BB2_857 Depth 5
                                        ;         Child Loop BB2_869 Depth 4
                                        ;         Child Loop BB2_874 Depth 4
	;; [unrolled: 1-line block ×6, first 2 shown]
	s_and_saveexec_b32 s14, s0
	s_cbranch_execz .LBB2_758
; %bb.757:                              ;   in Loop: Header=BB2_756 Depth=3
	s_trap 2
	ds_load_b128 v[8:11], v0
	v_ashrrev_i32_e32 v51, 31, v55
	s_wait_dscnt 0x0
	v_add_co_u32 v52, vcc_lo, v10, v68
	s_wait_alu 0xfffd
	v_add_co_ci_u32_e64 v53, null, v11, v69, vcc_lo
	v_add_co_u32 v8, vcc_lo, v8, v68
	s_wait_alu 0xfffd
	v_add_co_ci_u32_e64 v9, null, v9, v69, vcc_lo
	;; [unrolled: 3-line block ×3, first 2 shown]
	v_cmp_ne_u64_e32 vcc_lo, 0, v[10:11]
	v_add_co_u32 v8, s13, v8, v55
	s_wait_alu 0xf1ff
	v_add_co_ci_u32_e64 v9, null, v9, v51, s13
	s_wait_alu 0xfffd
	v_dual_cndmask_b32 v11, 0, v53 :: v_dual_cndmask_b32 v10, 0, v52
	ds_store_b64 v0, v[8:9]
	ds_store_b64 v0, v[10:11]
.LBB2_758:                              ;   in Loop: Header=BB2_756 Depth=3
	s_wait_alu 0xfffe
	s_or_b32 exec_lo, exec_lo, s14
	v_sub_nc_u32_e32 v8, v3, v55
	v_and_b32_e32 v9, 12, v70
	s_mov_b32 s14, exec_lo
	s_delay_alu instid0(VALU_DEP_2) | instskip(NEXT) | instid1(VALU_DEP_2)
	v_min_i32_e32 v50, v50, v8
	v_cmpx_ne_u32_e32 0, v9
	s_cbranch_execz .LBB2_784
; %bb.759:                              ;   in Loop: Header=BB2_756 Depth=3
	v_and_b32_e32 v53, 8, v70
	s_mov_b32 s15, exec_lo
	s_delay_alu instid0(VALU_DEP_1)
	v_add_co_u32 v10, vcc_lo, v26, v53
	s_wait_alu 0xfffd
	v_add_co_ci_u32_e64 v11, null, 0, v27, vcc_lo
	v_add_co_u32 v8, vcc_lo, v38, 2
	s_wait_alu 0xfffd
	v_add_co_ci_u32_e64 v9, null, 0, v39, vcc_lo
	s_delay_alu instid0(VALU_DEP_1)
	v_cmpx_lt_u64_e64 v[10:11], v[8:9]
	s_cbranch_execz .LBB2_771
; %bb.760:                              ;   in Loop: Header=BB2_756 Depth=3
	v_and_b32_e32 v10, 64, v70
	s_mov_b32 s16, 0
	s_mov_b32 s25, 0
                                        ; implicit-def: $sgpr17
                                        ; implicit-def: $sgpr23
                                        ; implicit-def: $sgpr24
	s_delay_alu instid0(VALU_DEP_1)
	v_cmp_eq_u32_e32 vcc_lo, 0, v10
	s_branch .LBB2_764
.LBB2_761:                              ;   in Loop: Header=BB2_764 Depth=4
	v_add_co_u32 v51, s13, v26, v53
	s_wait_alu 0xf1ff
	v_add_co_ci_u32_e64 v52, null, 0, v27, s13
	s_or_b32 s28, s28, exec_lo
	v_cmp_ge_u64_e64 s13, v[51:52], v[8:9]
	s_or_not1_b32 s27, s13, exec_lo
.LBB2_762:                              ;   in Loop: Header=BB2_764 Depth=4
	s_wait_alu 0xfffe
	s_or_b32 exec_lo, exec_lo, s42
	s_delay_alu instid0(SALU_CYCLE_1)
	s_and_not1_b32 s13, s24, exec_lo
	s_and_b32 s24, s28, exec_lo
	s_and_not1_b32 s23, s23, exec_lo
	s_and_b32 s27, s27, exec_lo
	s_wait_alu 0xfffe
	s_or_b32 s24, s13, s24
	s_or_b32 s23, s23, s27
.LBB2_763:                              ;   in Loop: Header=BB2_764 Depth=4
	s_wait_alu 0xfffe
	s_or_b32 exec_lo, exec_lo, s26
	s_delay_alu instid0(SALU_CYCLE_1)
	s_and_b32 s13, exec_lo, s23
	s_wait_alu 0xfffe
	s_or_b32 s16, s13, s16
	s_and_not1_b32 s13, s17, exec_lo
	s_and_b32 s17, s24, exec_lo
	s_wait_alu 0xfffe
	s_or_b32 s17, s13, s17
	s_and_not1_b32 exec_lo, exec_lo, s16
	s_cbranch_execz .LBB2_768
.LBB2_764:                              ;   Parent Loop BB2_47 Depth=1
                                        ;     Parent Loop BB2_753 Depth=2
                                        ;       Parent Loop BB2_756 Depth=3
                                        ; =>      This Inner Loop Header: Depth=4
	s_sleep 1
	flat_load_b64 v[26:27], v[20:21] scope:SCOPE_SYS
	s_wait_loadcnt_dscnt 0x0
	global_inv scope:SCOPE_SYS
	s_or_b32 s24, s24, exec_lo
	s_or_b32 s23, s23, exec_lo
                                        ; implicit-def: $vgpr10
	s_and_saveexec_b32 s26, vcc_lo
	s_cbranch_execz .LBB2_763
; %bb.765:                              ;   in Loop: Header=BB2_764 Depth=4
	s_wait_alu 0xfffe
	s_cmp_lt_i32 s25, 0x270f
	s_mov_b32 s27, -1
	s_cselect_b32 s29, -1, 0
	s_cmp_gt_i32 s25, 0x270e
	s_cbranch_scc0 .LBB2_767
; %bb.766:                              ;   in Loop: Header=BB2_764 Depth=4
	s_trap 2
	ds_load_b64 v[10:11], v0
	s_wait_alu 0xfffe
	s_and_not1_b32 s25, s29, exec_lo
	s_mov_b32 s28, 0
	s_wait_storecnt 0x0
	s_wait_loadcnt_dscnt 0x0
	flat_load_b32 v10, v[10:11] scope:SCOPE_SYS
	s_wait_loadcnt_dscnt 0x0
	global_inv scope:SCOPE_SYS
	v_cmp_eq_u32_e64 s13, 0, v10
	s_and_b32 s13, s13, exec_lo
	s_wait_alu 0xfffe
	s_or_b32 s29, s25, s13
	s_mov_b32 s25, 0
	s_wait_alu 0xfffe
	s_and_saveexec_b32 s42, s29
	s_cbranch_execz .LBB2_762
	s_branch .LBB2_761
.LBB2_767:                              ;   in Loop: Header=BB2_764 Depth=4
	s_add_co_i32 s25, s25, 1
	s_mov_b32 s28, -1
                                        ; implicit-def: $vgpr10
	s_wait_alu 0xfffe
	s_and_saveexec_b32 s42, s29
	s_cbranch_execz .LBB2_762
	s_branch .LBB2_761
.LBB2_768:                              ;   in Loop: Header=BB2_756 Depth=3
	s_or_b32 exec_lo, exec_lo, s16
	s_wait_alu 0xfffe
	s_xor_b32 s13, s17, -1
	s_wait_alu 0xfffe
	s_and_saveexec_b32 s16, s13
	s_wait_alu 0xfffe
	s_xor_b32 s13, exec_lo, s16
	s_cbranch_execz .LBB2_770
; %bb.769:                              ;   in Loop: Header=BB2_756 Depth=3
	v_or_b32_e32 v70, 64, v70
	s_wait_loadcnt 0x0
	s_wait_storecnt 0x0
	ds_store_b32 v0, v10
	s_trap 2
.LBB2_770:                              ;   in Loop: Header=BB2_756 Depth=3
	s_wait_alu 0xfffe
	s_or_b32 exec_lo, exec_lo, s13
.LBB2_771:                              ;   in Loop: Header=BB2_756 Depth=3
	s_wait_alu 0xfffe
	s_or_b32 exec_lo, exec_lo, s15
	v_and_b32_e32 v10, 0x108, v70
	;;#ASMSTART
	s_wakeup
	;;#ASMEND
	s_delay_alu instid0(VALU_DEP_1)
	v_cmp_ne_u32_e32 vcc_lo, 0x108, v10
                                        ; implicit-def: $vgpr10_vgpr11
	s_and_saveexec_b32 s13, vcc_lo
	s_wait_alu 0xfffe
	s_xor_b32 s13, exec_lo, s13
; %bb.772:                              ;   in Loop: Header=BB2_756 Depth=3
	v_dual_mov_b32 v11, v2 :: v_dual_and_b32 v10, 7, v38
                                        ; implicit-def: $vgpr38_vgpr39
; %bb.773:                              ;   in Loop: Header=BB2_756 Depth=3
	s_wait_alu 0xfffe
	s_and_not1_saveexec_b32 s13, s13
	s_cbranch_execz .LBB2_775
; %bb.774:                              ;   in Loop: Header=BB2_756 Depth=3
	v_dual_mov_b32 v11, v2 :: v_dual_and_b32 v10, 7, v38
	v_ashrrev_i32_e32 v51, 31, v50
	s_delay_alu instid0(VALU_DEP_2)
	v_mad_co_u64_u32 v[38:39], null, v10, 24, v[6:7]
	flat_store_b64 v[38:39], v[50:51] offset:8
.LBB2_775:                              ;   in Loop: Header=BB2_756 Depth=3
	s_wait_alu 0xfffe
	s_or_b32 exec_lo, exec_lo, s13
	v_and_b32_e32 v38, 0x100, v70
	s_mov_b32 s13, -1
	s_delay_alu instid0(VALU_DEP_1)
	v_cmp_ne_u32_e32 vcc_lo, 0, v38
                                        ; implicit-def: $vgpr38_vgpr39
	s_and_saveexec_b32 s15, vcc_lo
	s_cbranch_execz .LBB2_779
; %bb.776:                              ;   in Loop: Header=BB2_756 Depth=3
	v_mad_co_u64_u32 v[51:52], null, v10, 24, v[6:7]
	s_delay_alu instid0(VALU_DEP_1) | instskip(NEXT) | instid1(VALU_DEP_1)
	v_mov_b32_e32 v38, v52
	v_mad_co_u64_u32 v[38:39], null, v11, 24, v[38:39]
	s_delay_alu instid0(VALU_DEP_1)
	v_mov_b32_e32 v52, v38
	flat_load_b32 v38, v[51:52]
	s_wait_loadcnt_dscnt 0x0
	v_cmp_eq_u32_e64 s13, 1, v38
	v_cmp_ne_u32_e32 vcc_lo, 1, v38
                                        ; implicit-def: $vgpr38_vgpr39
	s_wait_alu 0xfffe
	s_and_saveexec_b32 s16, s13
	s_cbranch_execz .LBB2_778
; %bb.777:                              ;   in Loop: Header=BB2_756 Depth=3
	flat_load_b32 v38, v[51:52] offset:4 scope:SCOPE_SYS
	s_wait_loadcnt_dscnt 0x0
	v_ashrrev_i32_e32 v39, 31, v38
.LBB2_778:                              ;   in Loop: Header=BB2_756 Depth=3
	s_wait_alu 0xfffe
	s_or_b32 exec_lo, exec_lo, s16
	s_delay_alu instid0(SALU_CYCLE_1)
	s_or_not1_b32 s13, vcc_lo, exec_lo
.LBB2_779:                              ;   in Loop: Header=BB2_756 Depth=3
	s_wait_alu 0xfffe
	s_or_b32 exec_lo, exec_lo, s15
	s_and_saveexec_b32 s15, s13
; %bb.780:                              ;   in Loop: Header=BB2_756 Depth=3
	v_mul_lo_u32 v11, v11, v71
	v_mul_lo_u32 v51, v10, v80
	v_mad_co_u64_u32 v[38:39], null, v10, v71, 0
	s_delay_alu instid0(VALU_DEP_1)
	v_add3_u32 v39, v39, v51, v11
; %bb.781:                              ;   in Loop: Header=BB2_756 Depth=3
	s_wait_alu 0xfffe
	s_or_b32 exec_lo, exec_lo, s15
	v_cmp_eq_u32_e32 vcc_lo, 0, v53
	v_and_b32_e32 v52, 0x2000, v70
	s_mov_b32 s13, exec_lo
	s_wait_alu 0xfffd
	v_cndmask_b32_e32 v51, 0xd0, v86, vcc_lo
	v_add_co_u32 v10, vcc_lo, v22, v38
	s_wait_alu 0xfffd
	v_add_co_ci_u32_e64 v11, null, v23, v39, vcc_lo
	s_delay_alu instid0(VALU_DEP_3)
	v_add_nc_u32_e32 v38, v0, v51
	ds_store_b64 v38, v[10:11] offset:584
	v_cmpx_ne_u32_e32 0, v52
	s_cbranch_execz .LBB2_783
; %bb.782:                              ;   in Loop: Header=BB2_756 Depth=3
	ds_load_b64 v[10:11], v0 offset:872
	s_wait_dscnt 0x0
	v_add_co_u32 v10, vcc_lo, v10, 1
	s_wait_alu 0xfffd
	v_add_co_ci_u32_e64 v11, null, 0, v11, vcc_lo
	ds_store_b64 v0, v[10:11] offset:872
.LBB2_783:                              ;   in Loop: Header=BB2_756 Depth=3
	s_wait_alu 0xfffe
	s_or_b32 exec_lo, exec_lo, s13
	v_dual_mov_b32 v39, v9 :: v_dual_mov_b32 v38, v8
.LBB2_784:                              ;   in Loop: Header=BB2_756 Depth=3
	s_wait_alu 0xfffe
	s_or_b32 exec_lo, exec_lo, s14
	s_and_saveexec_b32 s13, s2
	s_cbranch_execz .LBB2_803
; %bb.785:                              ;   in Loop: Header=BB2_756 Depth=3
	s_and_saveexec_b32 s14, s3
	s_wait_alu 0xfffe
	s_xor_b32 s14, exec_lo, s14
	s_cbranch_execz .LBB2_800
; %bb.786:                              ;   in Loop: Header=BB2_756 Depth=3
	s_and_saveexec_b32 s15, s6
	s_cbranch_execz .LBB2_799
; %bb.787:                              ;   in Loop: Header=BB2_756 Depth=3
	s_mov_b32 s17, exec_lo
	s_mov_b32 s16, exec_lo
	s_wait_alu 0xfffe
	v_mbcnt_lo_u32_b32 v8, s17, 0
	s_wait_storecnt 0x0
	s_wait_loadcnt_dscnt 0x0
	global_inv scope:SCOPE_DEV
	v_cmpx_eq_u32_e32 0, v8
	s_cbranch_execz .LBB2_789
; %bb.788:                              ;   in Loop: Header=BB2_756 Depth=3
	s_bcnt1_i32_b32 s17, s17
	s_wait_alu 0xfffe
	v_dual_mov_b32 v9, v2 :: v_dual_mov_b32 v8, s17
	s_wait_loadcnt 0x0
	ds_add_u64 v0, v[8:9]
	s_trap 2
.LBB2_789:                              ;   in Loop: Header=BB2_756 Depth=3
	s_or_b32 exec_lo, exec_lo, s16
	s_trap 2
	ds_load_b64 v[8:9], v0
	s_wait_dscnt 0x0
	global_inv scope:SCOPE_SE
	v_add_co_u32 v12, vcc_lo, v12, v81
	s_wait_alu 0xfffd
	v_add_co_ci_u32_e64 v13, null, 0, v13, vcc_lo
	s_mov_b32 s16, exec_lo
	v_cmpx_lt_u64_e64 v[8:9], v[12:13]
	s_cbranch_execz .LBB2_798
; %bb.790:                              ;   in Loop: Header=BB2_756 Depth=3
	s_mov_b32 s17, 0
	s_mov_b32 s25, 0
                                        ; implicit-def: $sgpr23
                                        ; implicit-def: $sgpr24
	s_branch .LBB2_792
.LBB2_791:                              ;   in Loop: Header=BB2_792 Depth=4
	s_wait_alu 0xfffe
	s_or_b32 exec_lo, exec_lo, s27
	s_delay_alu instid0(SALU_CYCLE_1)
	s_and_b32 s26, exec_lo, s28
	s_wait_alu 0xfffe
	s_or_b32 s17, s26, s17
	s_and_not1_b32 s23, s23, exec_lo
	s_and_b32 s26, s24, exec_lo
	s_wait_alu 0xfffe
	s_or_b32 s23, s23, s26
	s_and_not1_b32 exec_lo, exec_lo, s17
	s_cbranch_execz .LBB2_796
.LBB2_792:                              ;   Parent Loop BB2_47 Depth=1
                                        ;     Parent Loop BB2_753 Depth=2
                                        ;       Parent Loop BB2_756 Depth=3
                                        ; =>      This Inner Loop Header: Depth=4
	s_wait_alu 0xfffe
	s_add_co_i32 s25, s25, 1
	s_wait_alu 0xfffe
	s_cmp_lg_u32 s25, 0x2710
	s_cselect_b32 s26, -1, 0
	s_wait_alu 0xfffe
	s_and_b32 vcc_lo, exec_lo, s26
	s_wait_alu 0xfffe
	s_cbranch_vccz .LBB2_794
; %bb.793:                              ;   in Loop: Header=BB2_792 Depth=4
	s_mov_b32 s28, -1
	s_or_b32 s24, s24, exec_lo
	s_and_saveexec_b32 s27, s26
	s_cbranch_execz .LBB2_791
	s_branch .LBB2_795
.LBB2_794:                              ;   in Loop: Header=BB2_792 Depth=4
	s_trap 2
	ds_load_b64 v[8:9], v0
	s_and_not1_b32 s26, s26, exec_lo
	s_mov_b32 s25, 0
	s_wait_loadcnt_dscnt 0x0
	flat_load_b32 v8, v[8:9] scope:SCOPE_SYS
	s_wait_loadcnt_dscnt 0x0
	global_inv scope:SCOPE_SYS
	v_cmp_eq_u32_e32 vcc_lo, 0, v8
	s_and_b32 s27, vcc_lo, exec_lo
	s_wait_alu 0xfffe
	s_or_b32 s26, s26, s27
	s_mov_b32 s28, -1
	s_or_b32 s24, s24, exec_lo
	s_wait_alu 0xfffe
	s_and_saveexec_b32 s27, s26
	s_cbranch_execz .LBB2_791
.LBB2_795:                              ;   in Loop: Header=BB2_792 Depth=4
	s_sleep 1
	s_trap 2
	ds_load_b64 v[8:9], v0
	s_wait_dscnt 0x0
	global_inv scope:SCOPE_SE
	s_wait_alu 0xfffe
	s_and_not1_b32 s24, s24, exec_lo
	v_cmp_ge_u64_e32 vcc_lo, v[8:9], v[12:13]
	s_or_not1_b32 s28, vcc_lo, exec_lo
	s_branch .LBB2_791
.LBB2_796:                              ;   in Loop: Header=BB2_756 Depth=3
	s_or_b32 exec_lo, exec_lo, s17
	s_wait_alu 0xfffe
	s_and_saveexec_b32 s17, s23
	s_wait_alu 0xfffe
	s_xor_b32 s17, exec_lo, s17
	s_cbranch_execz .LBB2_798
; %bb.797:                              ;   in Loop: Header=BB2_756 Depth=3
	ds_store_b32 v0, v84
	s_trap 2
.LBB2_798:                              ;   in Loop: Header=BB2_756 Depth=3
	s_wait_alu 0xfffe
	s_or_b32 exec_lo, exec_lo, s16
	;;#ASMSTART
	s_wakeup
	;;#ASMEND
.LBB2_799:                              ;   in Loop: Header=BB2_756 Depth=3
	s_wait_alu 0xfffe
	s_or_b32 exec_lo, exec_lo, s15
.LBB2_800:                              ;   in Loop: Header=BB2_756 Depth=3
	s_wait_alu 0xfffe
	s_and_not1_saveexec_b32 s14, s14
	s_cbranch_execz .LBB2_802
; %bb.801:                              ;   in Loop: Header=BB2_756 Depth=3
	s_wait_storecnt 0x0
	s_wait_loadcnt_dscnt 0x0
	global_inv scope:SCOPE_DEV
	s_barrier_signal -1
	s_barrier_wait -1
.LBB2_802:                              ;   in Loop: Header=BB2_756 Depth=3
	s_wait_alu 0xfffe
	s_or_b32 exec_lo, exec_lo, s14
.LBB2_803:                              ;   in Loop: Header=BB2_756 Depth=3
	s_wait_alu 0xfffe
	s_or_b32 exec_lo, exec_lo, s13
	s_trap 2
	ds_load_b32 v8, v0
	v_and_b32_e32 v9, 0x4000, v70
	s_xor_b32 s13, s1, -1
	s_delay_alu instid0(VALU_DEP_1)
	v_cmp_ne_u32_e32 vcc_lo, 0, v9
	s_wait_alu 0xfffe
	s_and_b32 s14, s13, vcc_lo
	s_wait_alu 0xfffe
	s_and_saveexec_b32 s13, s14
	s_cbranch_execz .LBB2_822
; %bb.804:                              ;   in Loop: Header=BB2_756 Depth=3
	s_and_saveexec_b32 s14, s3
	s_wait_alu 0xfffe
	s_xor_b32 s14, exec_lo, s14
	s_cbranch_execz .LBB2_819
; %bb.805:                              ;   in Loop: Header=BB2_756 Depth=3
	s_and_saveexec_b32 s15, s6
	s_cbranch_execz .LBB2_818
; %bb.806:                              ;   in Loop: Header=BB2_756 Depth=3
	s_mov_b32 s17, exec_lo
	s_mov_b32 s16, exec_lo
	s_wait_alu 0xfffe
	v_mbcnt_lo_u32_b32 v9, s17, 0
	s_wait_storecnt 0x0
	s_wait_loadcnt_dscnt 0x0
	global_inv scope:SCOPE_DEV
	v_cmpx_eq_u32_e32 0, v9
	s_cbranch_execz .LBB2_808
; %bb.807:                              ;   in Loop: Header=BB2_756 Depth=3
	s_bcnt1_i32_b32 s17, s17
	s_wait_alu 0xfffe
	v_dual_mov_b32 v10, v2 :: v_dual_mov_b32 v9, s17
	s_wait_loadcnt 0x0
	ds_add_u64 v0, v[9:10]
	s_trap 2
.LBB2_808:                              ;   in Loop: Header=BB2_756 Depth=3
	s_or_b32 exec_lo, exec_lo, s16
	s_trap 2
	ds_load_b64 v[9:10], v0
	s_wait_dscnt 0x0
	global_inv scope:SCOPE_SE
	v_add_co_u32 v12, vcc_lo, v12, v81
	s_wait_alu 0xfffd
	v_add_co_ci_u32_e64 v13, null, 0, v13, vcc_lo
	s_mov_b32 s16, exec_lo
	v_cmpx_lt_u64_e64 v[9:10], v[12:13]
	s_cbranch_execz .LBB2_817
; %bb.809:                              ;   in Loop: Header=BB2_756 Depth=3
	s_mov_b32 s17, 0
	s_mov_b32 s25, 0
                                        ; implicit-def: $sgpr23
                                        ; implicit-def: $sgpr24
	s_branch .LBB2_811
.LBB2_810:                              ;   in Loop: Header=BB2_811 Depth=4
	s_wait_alu 0xfffe
	s_or_b32 exec_lo, exec_lo, s27
	s_delay_alu instid0(SALU_CYCLE_1)
	s_and_b32 s26, exec_lo, s28
	s_wait_alu 0xfffe
	s_or_b32 s17, s26, s17
	s_and_not1_b32 s23, s23, exec_lo
	s_and_b32 s26, s24, exec_lo
	s_wait_alu 0xfffe
	s_or_b32 s23, s23, s26
	s_and_not1_b32 exec_lo, exec_lo, s17
	s_cbranch_execz .LBB2_815
.LBB2_811:                              ;   Parent Loop BB2_47 Depth=1
                                        ;     Parent Loop BB2_753 Depth=2
                                        ;       Parent Loop BB2_756 Depth=3
                                        ; =>      This Inner Loop Header: Depth=4
	s_wait_alu 0xfffe
	s_add_co_i32 s25, s25, 1
	s_wait_alu 0xfffe
	s_cmp_lg_u32 s25, 0x2710
	s_cselect_b32 s26, -1, 0
	s_wait_alu 0xfffe
	s_and_b32 vcc_lo, exec_lo, s26
	s_wait_alu 0xfffe
	s_cbranch_vccz .LBB2_813
; %bb.812:                              ;   in Loop: Header=BB2_811 Depth=4
	s_mov_b32 s28, -1
	s_or_b32 s24, s24, exec_lo
	s_and_saveexec_b32 s27, s26
	s_cbranch_execz .LBB2_810
	s_branch .LBB2_814
.LBB2_813:                              ;   in Loop: Header=BB2_811 Depth=4
	s_trap 2
	ds_load_b64 v[9:10], v0
	s_and_not1_b32 s26, s26, exec_lo
	s_mov_b32 s25, 0
	s_wait_loadcnt_dscnt 0x0
	flat_load_b32 v9, v[9:10] scope:SCOPE_SYS
	s_wait_loadcnt_dscnt 0x0
	global_inv scope:SCOPE_SYS
	v_cmp_eq_u32_e32 vcc_lo, 0, v9
	s_and_b32 s27, vcc_lo, exec_lo
	s_wait_alu 0xfffe
	s_or_b32 s26, s26, s27
	s_mov_b32 s28, -1
	s_or_b32 s24, s24, exec_lo
	s_wait_alu 0xfffe
	s_and_saveexec_b32 s27, s26
	s_cbranch_execz .LBB2_810
.LBB2_814:                              ;   in Loop: Header=BB2_811 Depth=4
	s_sleep 1
	s_trap 2
	ds_load_b64 v[9:10], v0
	s_wait_dscnt 0x0
	global_inv scope:SCOPE_SE
	s_wait_alu 0xfffe
	s_and_not1_b32 s24, s24, exec_lo
	v_cmp_ge_u64_e32 vcc_lo, v[9:10], v[12:13]
	s_or_not1_b32 s28, vcc_lo, exec_lo
	s_branch .LBB2_810
.LBB2_815:                              ;   in Loop: Header=BB2_756 Depth=3
	s_or_b32 exec_lo, exec_lo, s17
	s_wait_alu 0xfffe
	s_and_saveexec_b32 s17, s23
	s_wait_alu 0xfffe
	s_xor_b32 s17, exec_lo, s17
	s_cbranch_execz .LBB2_817
; %bb.816:                              ;   in Loop: Header=BB2_756 Depth=3
	ds_store_b32 v0, v84
	s_trap 2
.LBB2_817:                              ;   in Loop: Header=BB2_756 Depth=3
	s_wait_alu 0xfffe
	s_or_b32 exec_lo, exec_lo, s16
	;;#ASMSTART
	s_wakeup
	;;#ASMEND
.LBB2_818:                              ;   in Loop: Header=BB2_756 Depth=3
	s_wait_alu 0xfffe
	s_or_b32 exec_lo, exec_lo, s15
.LBB2_819:                              ;   in Loop: Header=BB2_756 Depth=3
	s_wait_alu 0xfffe
	s_and_not1_saveexec_b32 s14, s14
	s_cbranch_execz .LBB2_821
; %bb.820:                              ;   in Loop: Header=BB2_756 Depth=3
	s_wait_storecnt 0x0
	s_wait_loadcnt_dscnt 0x0
	global_inv scope:SCOPE_DEV
	s_barrier_signal -1
	s_barrier_wait -1
.LBB2_821:                              ;   in Loop: Header=BB2_756 Depth=3
	s_wait_alu 0xfffe
	s_or_b32 exec_lo, exec_lo, s14
.LBB2_822:                              ;   in Loop: Header=BB2_756 Depth=3
	s_wait_alu 0xfffe
	s_or_b32 exec_lo, exec_lo, s13
	s_trap 2
	ds_load_b64 v[51:52], v0
	s_wait_dscnt 0x0
	v_cmp_eq_u64_e32 vcc_lo, 0, v[51:52]
	s_cbranch_vccnz .LBB2_831
; %bb.823:                              ;   in Loop: Header=BB2_756 Depth=3
	s_trap 2
	ds_load_b64 v[53:54], v0
	s_wait_dscnt 0x0
	v_cmp_eq_u64_e32 vcc_lo, 0, v[53:54]
	s_cbranch_vccnz .LBB2_831
; %bb.824:                              ;   in Loop: Header=BB2_756 Depth=3
	s_trap 2
	ds_load_b64 v[64:65], v0
	v_cmp_eq_u32_e64 s13, 0, v8
	s_wait_alu 0xf1ff
	s_delay_alu instid0(VALU_DEP_1)
	v_cndmask_b32_e64 v128, 0, v50, s13
	s_mov_b32 s13, -1
	s_wait_dscnt 0x0
	v_cmp_ne_u64_e32 vcc_lo, 0, v[64:65]
	s_cbranch_vccz .LBB2_860
; %bb.825:                              ;   in Loop: Header=BB2_756 Depth=3
	s_and_saveexec_b32 s14, s11
	s_cbranch_execz .LBB2_827
; %bb.826:                              ;   in Loop: Header=BB2_756 Depth=3
	ds_load_b32 v8, v0 offset:720
	s_wait_dscnt 0x0
	v_and_b32_e32 v8, 15, v8
	s_delay_alu instid0(VALU_DEP_1)
	v_cmp_eq_u32_e32 vcc_lo, 0, v8
	s_or_not1_b32 s13, vcc_lo, exec_lo
.LBB2_827:                              ;   in Loop: Header=BB2_756 Depth=3
	s_wait_alu 0xfffe
	s_or_b32 exec_lo, exec_lo, s14
	s_and_saveexec_b32 s14, s12
	s_cbranch_execz .LBB2_829
; %bb.828:                              ;   in Loop: Header=BB2_756 Depth=3
	ds_load_b32 v8, v0 offset:784
	s_wait_dscnt 0x0
	v_and_b32_e32 v8, 15, v8
	s_delay_alu instid0(VALU_DEP_1)
	v_cmp_eq_u32_e32 vcc_lo, 0, v8
	s_and_b32 s15, s13, vcc_lo
	s_and_not1_b32 s13, s13, exec_lo
	s_wait_alu 0xfffe
	s_and_b32 s15, s15, exec_lo
	s_wait_alu 0xfffe
	s_or_b32 s13, s13, s15
.LBB2_829:                              ;   in Loop: Header=BB2_756 Depth=3
	s_wait_alu 0xfffe
	s_or_b32 exec_lo, exec_lo, s14
	s_xor_b32 s13, s13, -1
	v_dual_mov_b32 v66, 0 :: v_dual_mov_b32 v67, v128
	s_wait_alu 0xfffe
	v_cndmask_b32_e64 v8, 0, 1, s13
	v_mov_b32_e32 v129, v0
	s_mov_b32 s14, -1
	s_delay_alu instid0(VALU_DEP_2)
	v_cmp_ne_u32_e32 vcc_lo, 0, v8
	v_mov_b32_e32 v8, v102
	s_cbranch_vccz .LBB2_832
; %bb.830:                              ;   in Loop: Header=BB2_756 Depth=3
	s_wait_alu 0xfffe
	s_and_saveexec_b32 s15, s14
	s_cbranch_execnz .LBB2_849
	s_branch .LBB2_859
.LBB2_831:                              ;   in Loop: Header=BB2_756 Depth=3
	s_mov_b32 s13, 0
	s_and_saveexec_b32 s14, s2
	s_cbranch_execnz .LBB2_890
	s_branch .LBB2_908
.LBB2_832:                              ;   in Loop: Header=BB2_756 Depth=3
	v_ashrrev_i32_e32 v8, 31, v128
	v_sub_nc_u32_e32 v129, v128, v83
	s_mov_b32 s23, exec_lo
	s_delay_alu instid0(VALU_DEP_2) | instskip(NEXT) | instid1(VALU_DEP_1)
	v_lshrrev_b32_e32 v8, 23, v8
	v_add_nc_u32_e32 v8, v128, v8
	s_delay_alu instid0(VALU_DEP_1) | instskip(SKIP_1) | instid1(VALU_DEP_2)
	v_and_b32_e32 v130, 0xfffffe00, v8
	v_ashrrev_i32_e32 v8, 9, v8
	v_sub_nc_u32_e32 v132, v128, v130
	s_delay_alu instid0(VALU_DEP_1) | instskip(SKIP_1) | instid1(VALU_DEP_1)
	v_cmp_lt_i32_e64 s13, 15, v132
	s_wait_alu 0xf1ff
	v_add_co_ci_u32_e64 v133, null, v8, v115, s13
	v_cmpx_lt_i32_e32 15, v129
	s_cbranch_execz .LBB2_838
; %bb.833:                              ;   in Loop: Header=BB2_756 Depth=3
	v_add_co_u32 v66, vcc_lo, v51, v83
	s_wait_alu 0xfffd
	v_add_co_ci_u32_e64 v67, null, v52, v98, vcc_lo
	v_add_co_u32 v131, vcc_lo, v53, v83
	s_wait_alu 0xfffd
	v_add_co_ci_u32_e64 v134, null, v54, v98, vcc_lo
	;; [unrolled: 3-line block ×3, first 2 shown]
	s_mov_b32 s24, 0
.LBB2_834:                              ;   Parent Loop BB2_47 Depth=1
                                        ;     Parent Loop BB2_753 Depth=2
                                        ;       Parent Loop BB2_756 Depth=3
                                        ; =>      This Loop Header: Depth=4
                                        ;           Child Loop BB2_835 Depth 5
	global_load_b128 v[8:11], v[66:67], off th:TH_LOAD_NT
	s_mov_b64 s[16:17], 0
	s_mov_b32 s25, -1
.LBB2_835:                              ;   Parent Loop BB2_47 Depth=1
                                        ;     Parent Loop BB2_753 Depth=2
                                        ;       Parent Loop BB2_756 Depth=3
                                        ;         Parent Loop BB2_834 Depth=4
                                        ; =>        This Inner Loop Header: Depth=5
	s_wait_alu 0xfffe
	s_cmp_eq_u32 s16, 1
	s_cselect_b32 vcc_lo, -1, 0
	s_cmp_eq_u32 s16, 0
	s_wait_alu 0xfffe
	v_dual_cndmask_b32 v146, v134, v144 :: v_dual_cndmask_b32 v145, v131, v135
	s_mov_b64 s[16:17], 1
	s_delay_alu instid0(VALU_DEP_1) | instskip(SKIP_1) | instid1(VALU_DEP_2)
	v_add_co_u32 v147, s14, 0x200, v145
	s_wait_alu 0xf1ff
	v_add_co_ci_u32_e64 v148, null, 0, v146, s14
	s_cselect_b32 s14, -1, 0
	s_and_b32 s15, exec_lo, s25
	v_dual_cndmask_b32 v135, v135, v147 :: v_dual_cndmask_b32 v144, v144, v148
	s_wait_alu 0xfffe
	v_cndmask_b32_e64 v134, v134, v148, s14
	v_cndmask_b32_e64 v131, v131, v147, s14
	s_mov_b32 s25, 0
	s_mov_b32 vcc_lo, s15
	s_wait_loadcnt 0x0
	global_store_b128 v[145:146], v[8:11], off th:TH_STORE_NT
	s_wait_alu 0xfffe
	s_cbranch_vccnz .LBB2_835
; %bb.836:                              ;   in Loop: Header=BB2_834 Depth=4
	v_sub_nc_u32_e32 v129, v129, v96
	v_add_co_u32 v131, vcc_lo, v131, v100
	s_wait_alu 0xfffd
	v_add_co_ci_u32_e64 v134, null, v134, v103, vcc_lo
	v_add_co_u32 v135, vcc_lo, v135, v100
	s_wait_alu 0xfffd
	v_add_co_ci_u32_e64 v144, null, v144, v103, vcc_lo
	v_cmp_gt_i32_e32 vcc_lo, 16, v129
	v_add_co_u32 v66, s14, v116, v66
	s_wait_alu 0xf1ff
	v_add_co_ci_u32_e64 v67, null, v117, v67, s14
	v_sub_nc_u32_e32 v133, v133, v81
	s_or_b32 s24, vcc_lo, s24
	s_wait_alu 0xfffe
	s_and_not1_b32 exec_lo, exec_lo, s24
	s_cbranch_execnz .LBB2_834
; %bb.837:                              ;   in Loop: Header=BB2_756 Depth=3
	s_or_b32 exec_lo, exec_lo, s24
.LBB2_838:                              ;   in Loop: Header=BB2_756 Depth=3
	s_wait_alu 0xfffe
	s_or_b32 exec_lo, exec_lo, s23
	v_dual_mov_b32 v66, 0 :: v_dual_and_b32 v9, 15, v128
	s_mov_b32 s14, 0
	s_mov_b32 s23, exec_lo
                                        ; implicit-def: $vgpr67
                                        ; implicit-def: $vgpr129
                                        ; implicit-def: $vgpr8
	s_delay_alu instid0(VALU_DEP_1) | instskip(NEXT) | instid1(VALU_DEP_1)
	v_cndmask_b32_e64 v131, v132, v9, s13
	v_cmpx_ne_u32_e32 0, v131
	s_cbranch_execz .LBB2_848
; %bb.839:                              ;   in Loop: Header=BB2_756 Depth=3
	v_cmp_lt_i32_e32 vcc_lo, 0, v133
	v_ashrrev_i32_e32 v11, 31, v131
	v_sub_nc_u32_e32 v9, v132, v9
	s_mov_b32 s24, exec_lo
	s_delay_alu instid0(VALU_DEP_2) | instskip(SKIP_3) | instid1(VALU_DEP_3)
	v_lshrrev_b32_e32 v11, 23, v11
	s_wait_alu 0xfffd
	v_cndmask_b32_e32 v8, 0, v81, vcc_lo
	v_cndmask_b32_e64 v9, 0, v9, s13
	v_add_nc_u32_e32 v11, v131, v11
	s_delay_alu instid0(VALU_DEP_3) | instskip(NEXT) | instid1(VALU_DEP_3)
	v_sub_nc_u32_e32 v8, v8, v133
	v_add_nc_u32_e32 v130, v9, v130
	s_delay_alu instid0(VALU_DEP_3) | instskip(NEXT) | instid1(VALU_DEP_3)
	v_and_b32_e32 v133, 0xfffffe00, v11
	v_lshl_add_u32 v8, v8, 5, v114
	v_ashrrev_i32_e32 v11, 9, v11
	s_delay_alu instid0(VALU_DEP_3) | instskip(NEXT) | instid1(VALU_DEP_3)
	v_sub_nc_u32_e32 v132, v131, v133
	v_ashrrev_i32_e32 v10, 31, v8
	s_delay_alu instid0(VALU_DEP_2) | instskip(NEXT) | instid1(VALU_DEP_2)
	v_cmp_lt_i32_e64 s13, 15, v132
	v_lshrrev_b32_e32 v10, 27, v10
	s_wait_alu 0xf1ff
	s_delay_alu instid0(VALU_DEP_2) | instskip(NEXT) | instid1(VALU_DEP_2)
	v_add_co_ci_u32_e64 v11, null, 0, v11, s13
	v_add_nc_u32_e32 v10, v8, v10
	s_delay_alu instid0(VALU_DEP_1) | instskip(SKIP_1) | instid1(VALU_DEP_2)
	v_and_b32_e32 v66, 0xffffffe0, v10
	v_ashrrev_i32_e32 v10, 5, v10
	v_sub_nc_u32_e32 v134, v8, v66
	s_delay_alu instid0(VALU_DEP_2) | instskip(NEXT) | instid1(VALU_DEP_2)
	v_sub_nc_u32_e32 v135, v11, v10
	v_lshlrev_b32_e32 v8, 4, v134
	s_delay_alu instid0(VALU_DEP_1) | instskip(NEXT) | instid1(VALU_DEP_1)
	v_lshl_add_u32 v8, v10, 9, v8
	v_sub_nc_u32_e32 v129, v131, v8
	s_delay_alu instid0(VALU_DEP_1)
	v_cmpx_lt_i32_e32 15, v129
	s_cbranch_execz .LBB2_845
; %bb.840:                              ;   in Loop: Header=BB2_756 Depth=3
	v_add_nc_u32_e32 v8, v8, v130
	s_mov_b32 s25, 0
	s_delay_alu instid0(VALU_DEP_1) | instskip(SKIP_2) | instid1(VALU_DEP_2)
	v_ashrrev_i32_e32 v9, 31, v8
	v_add_co_u32 v66, vcc_lo, v8, v51
	s_wait_alu 0xfffd
	v_add_co_ci_u32_e64 v67, null, v9, v52, vcc_lo
	v_add_co_u32 v144, vcc_lo, v8, v53
	s_wait_alu 0xfffd
	v_add_co_ci_u32_e64 v145, null, v9, v54, vcc_lo
	;; [unrolled: 3-line block ×3, first 2 shown]
.LBB2_841:                              ;   Parent Loop BB2_47 Depth=1
                                        ;     Parent Loop BB2_753 Depth=2
                                        ;       Parent Loop BB2_756 Depth=3
                                        ; =>      This Loop Header: Depth=4
                                        ;           Child Loop BB2_842 Depth 5
	global_load_b128 v[8:11], v[66:67], off th:TH_LOAD_NT
	s_mov_b64 s[16:17], 0
	s_mov_b32 s26, -1
.LBB2_842:                              ;   Parent Loop BB2_47 Depth=1
                                        ;     Parent Loop BB2_753 Depth=2
                                        ;       Parent Loop BB2_756 Depth=3
                                        ;         Parent Loop BB2_841 Depth=4
                                        ; =>        This Inner Loop Header: Depth=5
	s_wait_alu 0xfffe
	s_cmp_eq_u32 s16, 1
	s_cselect_b32 vcc_lo, -1, 0
	s_cmp_eq_u32 s16, 0
	s_wait_alu 0xfffe
	v_dual_cndmask_b32 v149, v145, v147 :: v_dual_cndmask_b32 v148, v144, v146
	s_mov_b64 s[16:17], 1
	s_delay_alu instid0(VALU_DEP_1) | instskip(SKIP_1) | instid1(VALU_DEP_2)
	v_add_co_u32 v150, s14, 0x200, v148
	s_wait_alu 0xf1ff
	v_add_co_ci_u32_e64 v151, null, 0, v149, s14
	s_cselect_b32 s14, -1, 0
	s_and_b32 s15, exec_lo, s26
	v_dual_cndmask_b32 v146, v146, v150 :: v_dual_cndmask_b32 v147, v147, v151
	s_wait_alu 0xfffe
	v_cndmask_b32_e64 v145, v145, v151, s14
	v_cndmask_b32_e64 v144, v144, v150, s14
	s_mov_b32 s26, 0
	s_mov_b32 vcc_lo, s15
	s_wait_loadcnt 0x0
	global_store_b128 v[148:149], v[8:11], off th:TH_STORE_NT
	s_wait_alu 0xfffe
	s_cbranch_vccnz .LBB2_842
; %bb.843:                              ;   in Loop: Header=BB2_841 Depth=4
	v_sub_nc_u32_e32 v129, v129, v96
	v_add_co_u32 v144, vcc_lo, v144, v100
	s_wait_alu 0xfffd
	v_add_co_ci_u32_e64 v145, null, v145, v103, vcc_lo
	v_add_co_u32 v146, vcc_lo, v146, v100
	s_wait_alu 0xfffd
	v_add_co_ci_u32_e64 v147, null, v147, v103, vcc_lo
	v_cmp_gt_i32_e32 vcc_lo, 16, v129
	v_add_co_u32 v66, s14, v116, v66
	s_wait_alu 0xf1ff
	v_add_co_ci_u32_e64 v67, null, v117, v67, s14
	v_sub_nc_u32_e32 v135, v135, v81
	s_or_b32 s25, vcc_lo, s25
	s_wait_alu 0xfffe
	s_and_not1_b32 exec_lo, exec_lo, s25
	s_cbranch_execnz .LBB2_841
; %bb.844:                              ;   in Loop: Header=BB2_756 Depth=3
	s_or_b32 exec_lo, exec_lo, s25
.LBB2_845:                              ;   in Loop: Header=BB2_756 Depth=3
	s_wait_alu 0xfffe
	s_or_b32 exec_lo, exec_lo, s24
	v_dual_mov_b32 v66, 0 :: v_dual_and_b32 v9, 15, v131
	s_mov_b32 s14, 0
	s_mov_b32 s15, exec_lo
                                        ; implicit-def: $vgpr129
                                        ; implicit-def: $vgpr8
	s_delay_alu instid0(VALU_DEP_1) | instskip(NEXT) | instid1(VALU_DEP_1)
	v_cndmask_b32_e64 v67, v132, v9, s13
	v_cmpx_ne_u32_e32 0, v67
	s_cbranch_execz .LBB2_847
; %bb.846:                              ;   in Loop: Header=BB2_756 Depth=3
	v_cmp_lt_i32_e32 vcc_lo, 0, v135
	v_sub_nc_u32_e32 v9, v132, v9
	s_mov_b32 s14, exec_lo
	s_wait_alu 0xfffd
	v_cndmask_b32_e32 v8, 0, v81, vcc_lo
	s_delay_alu instid0(VALU_DEP_2) | instskip(NEXT) | instid1(VALU_DEP_2)
	v_cndmask_b32_e64 v9, 0, v9, s13
	v_sub_nc_u32_e32 v8, v8, v135
	s_delay_alu instid0(VALU_DEP_2) | instskip(NEXT) | instid1(VALU_DEP_2)
	v_add3_u32 v66, v133, v130, v9
	v_lshl_add_u32 v129, v8, 5, v134
	s_delay_alu instid0(VALU_DEP_1) | instskip(NEXT) | instid1(VALU_DEP_1)
	v_ashrrev_i32_e32 v8, 31, v129
	v_lshrrev_b32_e32 v8, 27, v8
	s_delay_alu instid0(VALU_DEP_1) | instskip(NEXT) | instid1(VALU_DEP_1)
	v_add_nc_u32_e32 v8, v129, v8
	v_ashrrev_i32_e32 v8, 5, v8
.LBB2_847:                              ;   in Loop: Header=BB2_756 Depth=3
	s_wait_alu 0xfffe
	s_or_b32 exec_lo, exec_lo, s15
	s_delay_alu instid0(SALU_CYCLE_1)
	s_and_b32 s14, s14, exec_lo
.LBB2_848:                              ;   in Loop: Header=BB2_756 Depth=3
	s_wait_alu 0xfffe
	s_or_b32 exec_lo, exec_lo, s23
	s_and_saveexec_b32 s15, s14
	s_cbranch_execz .LBB2_859
.LBB2_849:                              ;   in Loop: Header=BB2_756 Depth=3
	v_ashrrev_i32_e32 v9, 31, v67
	s_mov_b32 s14, exec_lo
	s_delay_alu instid0(VALU_DEP_1) | instskip(NEXT) | instid1(VALU_DEP_1)
	v_lshrrev_b32_e32 v9, 24, v9
	v_add_nc_u32_e32 v9, v67, v9
	s_delay_alu instid0(VALU_DEP_1) | instskip(SKIP_1) | instid1(VALU_DEP_2)
	v_ashrrev_i32_e32 v132, 8, v9
	v_ashrrev_i32_e32 v9, 31, v129
	v_sub_nc_u32_e32 v130, v132, v8
	s_delay_alu instid0(VALU_DEP_2) | instskip(NEXT) | instid1(VALU_DEP_2)
	v_lshrrev_b32_e32 v131, 27, v9
	v_cmpx_lt_i32_e32 0, v130
	s_cbranch_execz .LBB2_853
; %bb.850:                              ;   in Loop: Header=BB2_756 Depth=3
	s_delay_alu instid0(VALU_DEP_2)
	v_add_nc_u32_e32 v9, v129, v131
	v_lshlrev_b32_e32 v8, 8, v8
	v_add_co_u32 v135, vcc_lo, 0xe0, v51
	s_wait_alu 0xfffd
	v_add_co_ci_u32_e64 v144, null, 0, v52, vcc_lo
	v_and_b32_e32 v9, 0xffffffe0, v9
	s_mov_b32 s16, 0
	s_delay_alu instid0(VALU_DEP_1) | instskip(NEXT) | instid1(VALU_DEP_1)
	v_sub_nc_u32_e32 v9, v129, v9
	v_add3_u32 v133, v66, v9, v8
	s_delay_alu instid0(VALU_DEP_1) | instskip(SKIP_2) | instid1(VALU_DEP_2)
	v_ashrrev_i32_e32 v134, 31, v133
	v_add_co_u32 v8, vcc_lo, v133, v53
	s_wait_alu 0xfffd
	v_add_co_ci_u32_e64 v9, null, v134, v54, vcc_lo
	v_add_co_u32 v10, vcc_lo, v133, v64
	s_wait_alu 0xfffd
	v_add_co_ci_u32_e64 v11, null, v134, v65, vcc_lo
	v_add_co_u32 v64, vcc_lo, v135, v133
	s_wait_alu 0xfffd
	v_add_co_ci_u32_e64 v65, null, v144, v134, vcc_lo
.LBB2_851:                              ;   Parent Loop BB2_47 Depth=1
                                        ;     Parent Loop BB2_753 Depth=2
                                        ;       Parent Loop BB2_756 Depth=3
                                        ; =>      This Inner Loop Header: Depth=4
	s_clause 0x7
	flat_load_u8 v133, v[64:65] offset:-224 th:TH_LOAD_NT
	flat_load_u8 v134, v[64:65] offset:-192 th:TH_LOAD_NT
	;; [unrolled: 1-line block ×7, first 2 shown]
	flat_load_u8 v148, v[64:65] th:TH_LOAD_NT
	v_sub_nc_u32_e32 v130, v130, v81
	v_add_co_u32 v64, vcc_lo, v64, v97
	s_wait_alu 0xfffd
	v_add_co_ci_u32_e64 v65, null, 0, v65, vcc_lo
	s_delay_alu instid0(VALU_DEP_3)
	v_cmp_gt_i32_e32 vcc_lo, 1, v130
	s_wait_loadcnt_dscnt 0x707
	flat_store_b8 v[8:9], v133 th:TH_STORE_NT
	s_wait_loadcnt_dscnt 0x607
	flat_store_b8 v[8:9], v134 offset:32 th:TH_STORE_NT
	s_wait_loadcnt_dscnt 0x507
	flat_store_b8 v[8:9], v135 offset:64 th:TH_STORE_NT
	;; [unrolled: 2-line block ×7, first 2 shown]
	s_clause 0x7
	flat_store_b8 v[10:11], v133 th:TH_STORE_NT
	flat_store_b8 v[10:11], v134 offset:32 th:TH_STORE_NT
	flat_store_b8 v[10:11], v135 offset:64 th:TH_STORE_NT
	;; [unrolled: 1-line block ×7, first 2 shown]
	v_add_co_u32 v8, s13, v8, v97
	s_wait_alu 0xf1ff
	v_add_co_ci_u32_e64 v9, null, 0, v9, s13
	v_add_co_u32 v10, s13, v10, v97
	s_wait_alu 0xf1ff
	v_add_co_ci_u32_e64 v11, null, 0, v11, s13
	s_wait_alu 0xfffe
	s_or_b32 s16, vcc_lo, s16
	s_wait_alu 0xfffe
	s_and_not1_b32 exec_lo, exec_lo, s16
	s_cbranch_execnz .LBB2_851
; %bb.852:                              ;   in Loop: Header=BB2_756 Depth=3
	s_or_b32 exec_lo, exec_lo, s16
.LBB2_853:                              ;   in Loop: Header=BB2_756 Depth=3
	s_wait_alu 0xfffe
	s_or_b32 exec_lo, exec_lo, s14
	v_lshlrev_b32_e32 v8, 8, v132
	s_delay_alu instid0(VALU_DEP_1)
	v_cmp_ne_u32_e32 vcc_lo, v67, v8
	s_and_b32 exec_lo, exec_lo, vcc_lo
	s_cbranch_execz .LBB2_859
; %bb.854:                              ;   in Loop: Header=BB2_756 Depth=3
	v_add_nc_u32_e32 v9, v129, v131
	v_lshlrev_b32_e32 v10, 5, v130
	s_delay_alu instid0(VALU_DEP_2) | instskip(NEXT) | instid1(VALU_DEP_1)
	v_and_b32_e32 v9, 0xffffffe0, v9
	v_sub_nc_u32_e32 v9, v129, v9
	s_delay_alu instid0(VALU_DEP_1) | instskip(NEXT) | instid1(VALU_DEP_1)
	v_sub_nc_u32_e32 v9, v9, v10
	v_add_nc_u32_e32 v8, v8, v9
	s_delay_alu instid0(VALU_DEP_1) | instskip(NEXT) | instid1(VALU_DEP_1)
	v_sub_nc_u32_e32 v10, v67, v8
	v_cmp_lt_i32_e32 vcc_lo, 0, v10
	s_and_b32 exec_lo, exec_lo, vcc_lo
	s_cbranch_execz .LBB2_859
; %bb.855:                              ;   in Loop: Header=BB2_756 Depth=3
	s_trap 2
	ds_load_b64 v[64:65], v0
	ds_load_b128 v[129:132], v0
	v_add_nc_u32_e32 v66, v8, v66
	s_mov_b32 s23, 0
	s_delay_alu instid0(VALU_DEP_1) | instskip(SKIP_3) | instid1(VALU_DEP_2)
	v_ashrrev_i32_e32 v67, 31, v66
	s_wait_dscnt 0x1
	v_add_co_u32 v8, vcc_lo, v64, v66
	s_wait_alu 0xfffd
	v_add_co_ci_u32_e64 v9, null, v65, v67, vcc_lo
	s_wait_dscnt 0x0
	v_add_co_u32 v11, vcc_lo, v129, v66
	s_wait_alu 0xfffd
	v_add_co_ci_u32_e64 v64, null, v130, v67, vcc_lo
	v_add_co_u32 v65, vcc_lo, v131, v66
	s_wait_alu 0xfffd
	v_add_co_ci_u32_e64 v66, null, v132, v67, vcc_lo
.LBB2_856:                              ;   Parent Loop BB2_47 Depth=1
                                        ;     Parent Loop BB2_753 Depth=2
                                        ;       Parent Loop BB2_756 Depth=3
                                        ; =>      This Loop Header: Depth=4
                                        ;           Child Loop BB2_857 Depth 5
	flat_load_u8 v67, v[8:9] th:TH_LOAD_NT
	s_mov_b64 s[16:17], 0
	s_mov_b32 s24, -1
.LBB2_857:                              ;   Parent Loop BB2_47 Depth=1
                                        ;     Parent Loop BB2_753 Depth=2
                                        ;       Parent Loop BB2_756 Depth=3
                                        ;         Parent Loop BB2_856 Depth=4
                                        ; =>        This Inner Loop Header: Depth=5
	s_wait_alu 0xfffe
	s_cmp_eq_u32 s16, 1
	s_cselect_b32 vcc_lo, -1, 0
	s_cmp_eq_u32 s16, 0
	s_wait_alu 0xfffe
	v_dual_cndmask_b32 v130, v64, v66 :: v_dual_cndmask_b32 v129, v11, v65
	s_mov_b64 s[16:17], 1
	s_delay_alu instid0(VALU_DEP_1) | instskip(SKIP_1) | instid1(VALU_DEP_2)
	v_add_co_u32 v131, s13, v129, 32
	s_wait_alu 0xf1ff
	v_add_co_ci_u32_e64 v132, null, 0, v130, s13
	s_cselect_b32 s13, -1, 0
	s_and_b32 s14, exec_lo, s24
	v_dual_cndmask_b32 v65, v65, v131 :: v_dual_cndmask_b32 v66, v66, v132
	s_wait_alu 0xfffe
	v_cndmask_b32_e64 v64, v64, v132, s13
	v_cndmask_b32_e64 v11, v11, v131, s13
	s_mov_b32 s24, 0
	s_mov_b32 vcc_lo, s14
	s_wait_loadcnt_dscnt 0x0
	flat_store_b8 v[129:130], v67 th:TH_STORE_NT
	s_wait_alu 0xfffe
	s_cbranch_vccnz .LBB2_857
; %bb.858:                              ;   in Loop: Header=BB2_856 Depth=4
	v_sub_nc_u32_e32 v10, v10, v82
	v_add_co_u32 v11, vcc_lo, v11, v99
	s_wait_alu 0xfffd
	v_add_co_ci_u32_e64 v64, null, v64, v101, vcc_lo
	v_add_co_u32 v65, vcc_lo, v65, v99
	s_wait_alu 0xfffd
	v_add_co_ci_u32_e64 v66, null, v66, v101, vcc_lo
	v_cmp_gt_i32_e32 vcc_lo, 1, v10
	v_add_co_u32 v8, s13, v112, v8
	s_wait_alu 0xf1ff
	v_add_co_ci_u32_e64 v9, null, v113, v9, s13
	s_or_b32 s23, vcc_lo, s23
	s_wait_alu 0xfffe
	s_and_not1_b32 exec_lo, exec_lo, s23
	s_cbranch_execnz .LBB2_856
.LBB2_859:                              ;   in Loop: Header=BB2_756 Depth=3
	s_wait_alu 0xfffe
	s_or_b32 exec_lo, exec_lo, s15
	s_mov_b32 s13, 0
.LBB2_860:                              ;   in Loop: Header=BB2_756 Depth=3
	s_wait_alu 0xfffe
	s_and_b32 vcc_lo, exec_lo, s13
	s_wait_alu 0xfffe
	s_cbranch_vccz .LBB2_889
; %bb.861:                              ;   in Loop: Header=BB2_756 Depth=3
	s_mov_b32 s13, -1
	s_and_saveexec_b32 s14, s11
	s_cbranch_execz .LBB2_863
; %bb.862:                              ;   in Loop: Header=BB2_756 Depth=3
	ds_load_b32 v8, v0 offset:720
	s_wait_dscnt 0x0
	v_and_b32_e32 v8, 15, v8
	s_delay_alu instid0(VALU_DEP_1)
	v_cmp_eq_u32_e32 vcc_lo, 0, v8
	s_or_not1_b32 s13, vcc_lo, exec_lo
.LBB2_863:                              ;   in Loop: Header=BB2_756 Depth=3
	s_wait_alu 0xfffe
	s_or_b32 exec_lo, exec_lo, s14
	s_and_saveexec_b32 s14, s10
	s_cbranch_execz .LBB2_865
; %bb.864:                              ;   in Loop: Header=BB2_756 Depth=3
	ds_load_b32 v8, v0 offset:784
	s_wait_dscnt 0x0
	v_and_b32_e32 v8, 15, v8
	s_delay_alu instid0(VALU_DEP_1)
	v_cmp_eq_u32_e32 vcc_lo, 0, v8
	s_and_b32 s15, s13, vcc_lo
	s_and_not1_b32 s13, s13, exec_lo
	s_wait_alu 0xfffe
	s_and_b32 s15, s15, exec_lo
	s_wait_alu 0xfffe
	s_or_b32 s13, s13, s15
.LBB2_865:                              ;   in Loop: Header=BB2_756 Depth=3
	s_wait_alu 0xfffe
	s_or_b32 exec_lo, exec_lo, s14
	s_xor_b32 s13, s13, -1
	v_dual_mov_b32 v10, 0 :: v_dual_mov_b32 v9, v0
	s_wait_alu 0xfffe
	v_cndmask_b32_e64 v8, 0, 1, s13
	s_mov_b32 s13, -1
	v_mov_b32_e32 v129, v102
	s_delay_alu instid0(VALU_DEP_2)
	v_cmp_ne_u32_e32 vcc_lo, 0, v8
	v_mov_b32_e32 v8, v128
	s_cbranch_vccz .LBB2_867
; %bb.866:                              ;   in Loop: Header=BB2_756 Depth=3
	s_wait_alu 0xfffe
	s_and_saveexec_b32 s14, s13
	s_cbranch_execnz .LBB2_880
	s_branch .LBB2_888
.LBB2_867:                              ;   in Loop: Header=BB2_756 Depth=3
	v_ashrrev_i32_e32 v8, 31, v128
	s_mov_b32 s14, exec_lo
	s_delay_alu instid0(VALU_DEP_1) | instskip(NEXT) | instid1(VALU_DEP_1)
	v_lshrrev_b32_e32 v8, 22, v8
	v_add_nc_u32_e32 v8, v128, v8
	s_delay_alu instid0(VALU_DEP_1) | instskip(NEXT) | instid1(VALU_DEP_1)
	v_ashrrev_i32_e32 v10, 10, v8
	v_sub_nc_u32_e32 v64, v10, v102
	s_delay_alu instid0(VALU_DEP_1)
	v_cmpx_lt_i32_e32 0, v64
	s_cbranch_execz .LBB2_871
; %bb.868:                              ;   in Loop: Header=BB2_756 Depth=3
	v_dual_mov_b32 v8, v34 :: v_dual_mov_b32 v9, v35
	s_mov_b32 s15, 0
.LBB2_869:                              ;   Parent Loop BB2_47 Depth=1
                                        ;     Parent Loop BB2_753 Depth=2
                                        ;       Parent Loop BB2_756 Depth=3
                                        ; =>      This Inner Loop Header: Depth=4
	s_delay_alu instid0(VALU_DEP_1) | instskip(SKIP_1) | instid1(VALU_DEP_2)
	v_add_co_u32 v65, vcc_lo, v51, v8
	s_wait_alu 0xfffd
	v_add_co_ci_u32_e64 v66, null, v52, v9, vcc_lo
	v_sub_nc_u32_e32 v64, v64, v81
	s_clause 0x1
	global_load_b128 v[129:132], v[65:66], off th:TH_LOAD_NT
	global_load_b128 v[144:147], v[65:66], off offset:512 th:TH_LOAD_NT
	v_add_co_u32 v65, vcc_lo, v53, v8
	s_wait_alu 0xfffd
	v_add_co_ci_u32_e64 v66, null, v54, v9, vcc_lo
	v_cmp_gt_i32_e32 vcc_lo, 1, v64
	v_add_co_u32 v8, s13, v8, v87
	s_wait_alu 0xf1fe
	v_add_co_ci_u32_e64 v9, null, 0, v9, s13
	s_or_b32 s15, vcc_lo, s15
	s_wait_loadcnt 0x1
	global_store_b128 v[65:66], v[129:132], off th:TH_STORE_NT
	s_wait_loadcnt 0x0
	global_store_b128 v[65:66], v[144:147], off offset:512 th:TH_STORE_NT
	s_wait_alu 0xfffe
	s_and_not1_b32 exec_lo, exec_lo, s15
	s_cbranch_execnz .LBB2_869
; %bb.870:                              ;   in Loop: Header=BB2_756 Depth=3
	s_or_b32 exec_lo, exec_lo, s15
.LBB2_871:                              ;   in Loop: Header=BB2_756 Depth=3
	s_wait_alu 0xfffe
	s_or_b32 exec_lo, exec_lo, s14
	v_dual_mov_b32 v10, 0 :: v_dual_lshlrev_b32 v11, 10, v10
	s_mov_b32 s13, 0
	s_mov_b32 s15, exec_lo
                                        ; implicit-def: $vgpr8
                                        ; implicit-def: $vgpr9
                                        ; implicit-def: $vgpr129
	s_delay_alu instid0(VALU_DEP_1)
	v_cmpx_ne_u32_e64 v128, v11
	s_cbranch_execz .LBB2_879
; %bb.872:                              ;   in Loop: Header=BB2_756 Depth=3
	v_lshlrev_b32_e32 v8, 5, v64
	v_sub_nc_u32_e32 v10, v128, v11
	s_mov_b32 s16, exec_lo
	s_delay_alu instid0(VALU_DEP_2) | instskip(NEXT) | instid1(VALU_DEP_2)
	v_sub_nc_u32_e32 v8, v114, v8
	v_ashrrev_i32_e32 v64, 31, v10
	s_delay_alu instid0(VALU_DEP_2) | instskip(NEXT) | instid1(VALU_DEP_2)
	v_ashrrev_i32_e32 v9, 31, v8
	v_lshrrev_b32_e32 v64, 23, v64
	s_delay_alu instid0(VALU_DEP_2) | instskip(NEXT) | instid1(VALU_DEP_2)
	v_lshrrev_b32_e32 v9, 27, v9
	v_add_nc_u32_e32 v67, v10, v64
	s_delay_alu instid0(VALU_DEP_2) | instskip(NEXT) | instid1(VALU_DEP_2)
	v_add_nc_u32_e32 v9, v8, v9
	v_and_b32_e32 v64, 0xfffffe00, v67
	v_ashrrev_i32_e32 v67, 9, v67
	s_delay_alu instid0(VALU_DEP_3) | instskip(NEXT) | instid1(VALU_DEP_3)
	v_and_b32_e32 v65, 0xffffffe0, v9
	v_sub_nc_u32_e32 v66, v10, v64
	v_ashrrev_i32_e32 v129, 5, v9
	s_delay_alu instid0(VALU_DEP_3) | instskip(NEXT) | instid1(VALU_DEP_3)
	v_sub_nc_u32_e32 v65, v8, v65
	v_cmp_lt_i32_e32 vcc_lo, 15, v66
	s_delay_alu instid0(VALU_DEP_2) | instskip(SKIP_2) | instid1(VALU_DEP_2)
	v_lshlrev_b32_e32 v8, 4, v65
	s_wait_alu 0xfffd
	v_add_co_ci_u32_e64 v67, null, 0, v67, vcc_lo
	v_lshl_add_u32 v9, v129, 9, v8
	s_delay_alu instid0(VALU_DEP_2) | instskip(NEXT) | instid1(VALU_DEP_2)
	v_sub_nc_u32_e32 v67, v67, v129
	v_sub_nc_u32_e32 v8, v10, v9
	s_delay_alu instid0(VALU_DEP_1)
	v_cmpx_lt_i32_e32 15, v8
	s_cbranch_execz .LBB2_876
; %bb.873:                              ;   in Loop: Header=BB2_756 Depth=3
	v_add_nc_u32_e32 v9, v9, v11
	s_mov_b32 s17, 0
	s_delay_alu instid0(VALU_DEP_1)
	v_ashrrev_i32_e32 v10, 31, v9
.LBB2_874:                              ;   Parent Loop BB2_47 Depth=1
                                        ;     Parent Loop BB2_753 Depth=2
                                        ;       Parent Loop BB2_756 Depth=3
                                        ; =>      This Inner Loop Header: Depth=4
	v_add_co_u32 v129, s13, v51, v9
	s_wait_alu 0xf1fe
	s_delay_alu instid0(VALU_DEP_2)
	v_add_co_ci_u32_e64 v130, null, v52, v10, s13
	v_sub_nc_u32_e32 v8, v8, v96
	v_add_co_u32 v133, s13, v53, v9
	global_load_b128 v[129:132], v[129:130], off th:TH_LOAD_NT
	s_wait_alu 0xf1ff
	v_add_co_ci_u32_e64 v134, null, v54, v10, s13
	v_cmp_gt_i32_e64 s13, 16, v8
	v_add_co_u32 v9, s14, v9, v96
	v_sub_nc_u32_e32 v67, v67, v81
	s_wait_alu 0xf1ff
	v_add_co_ci_u32_e64 v10, null, 0, v10, s14
	s_or_b32 s17, s13, s17
	s_wait_loadcnt 0x0
	global_store_b128 v[133:134], v[129:132], off th:TH_STORE_NT
	s_wait_alu 0xfffe
	s_and_not1_b32 exec_lo, exec_lo, s17
	s_cbranch_execnz .LBB2_874
; %bb.875:                              ;   in Loop: Header=BB2_756 Depth=3
	s_or_b32 exec_lo, exec_lo, s17
.LBB2_876:                              ;   in Loop: Header=BB2_756 Depth=3
	s_wait_alu 0xfffe
	s_or_b32 exec_lo, exec_lo, s16
	v_and_b32_e32 v130, 15, v128
	v_mov_b32_e32 v10, 0
	s_mov_b32 s14, 0
	s_mov_b32 s16, exec_lo
                                        ; implicit-def: $vgpr9
                                        ; implicit-def: $vgpr129
	s_delay_alu instid0(VALU_DEP_2) | instskip(NEXT) | instid1(VALU_DEP_1)
	v_cndmask_b32_e32 v8, v66, v130, vcc_lo
	v_cmpx_ne_u32_e32 0, v8
	s_cbranch_execz .LBB2_878
; %bb.877:                              ;   in Loop: Header=BB2_756 Depth=3
	v_cmp_lt_i32_e64 s13, 0, v67
	s_mov_b32 s14, exec_lo
	s_wait_alu 0xf1ff
	v_cndmask_b32_e64 v9, 0, v81, s13
	s_delay_alu instid0(VALU_DEP_1) | instskip(NEXT) | instid1(VALU_DEP_1)
	v_sub_nc_u32_e32 v9, v9, v67
	v_lshl_add_u32 v9, v9, 5, v65
	v_sub_nc_u32_e32 v65, v66, v130
	s_delay_alu instid0(VALU_DEP_2) | instskip(NEXT) | instid1(VALU_DEP_1)
	v_ashrrev_i32_e32 v10, 31, v9
	v_lshrrev_b32_e32 v10, 27, v10
	s_delay_alu instid0(VALU_DEP_1) | instskip(NEXT) | instid1(VALU_DEP_1)
	v_dual_cndmask_b32 v65, 0, v65 :: v_dual_add_nc_u32 v66, v9, v10
	v_add3_u32 v10, v64, v11, v65
	s_delay_alu instid0(VALU_DEP_2)
	v_ashrrev_i32_e32 v129, 5, v66
.LBB2_878:                              ;   in Loop: Header=BB2_756 Depth=3
	s_wait_alu 0xfffe
	s_or_b32 exec_lo, exec_lo, s16
	s_delay_alu instid0(SALU_CYCLE_1)
	s_and_b32 s13, s14, exec_lo
.LBB2_879:                              ;   in Loop: Header=BB2_756 Depth=3
	s_wait_alu 0xfffe
	s_or_b32 exec_lo, exec_lo, s15
	s_and_saveexec_b32 s14, s13
	s_cbranch_execz .LBB2_888
.LBB2_880:                              ;   in Loop: Header=BB2_756 Depth=3
	v_ashrrev_i32_e32 v11, 31, v8
	v_ashrrev_i32_e32 v64, 31, v9
	s_mov_b32 s13, exec_lo
	s_delay_alu instid0(VALU_DEP_2) | instskip(NEXT) | instid1(VALU_DEP_2)
	v_lshrrev_b32_e32 v11, 24, v11
	v_lshrrev_b32_e32 v64, 27, v64
	s_delay_alu instid0(VALU_DEP_2) | instskip(NEXT) | instid1(VALU_DEP_1)
	v_add_nc_u32_e32 v11, v8, v11
	v_ashrrev_i32_e32 v65, 8, v11
	s_delay_alu instid0(VALU_DEP_1) | instskip(NEXT) | instid1(VALU_DEP_1)
	v_sub_nc_u32_e32 v11, v65, v129
	v_cmpx_lt_i32_e32 0, v11
	s_cbranch_execz .LBB2_884
; %bb.881:                              ;   in Loop: Header=BB2_756 Depth=3
	v_add_nc_u32_e32 v66, v9, v64
	v_lshlrev_b32_e32 v67, 8, v129
	s_mov_b32 s15, 0
	s_delay_alu instid0(VALU_DEP_2) | instskip(NEXT) | instid1(VALU_DEP_1)
	v_and_b32_e32 v66, 0xffffffe0, v66
	v_sub_nc_u32_e32 v66, v9, v66
	s_delay_alu instid0(VALU_DEP_1) | instskip(NEXT) | instid1(VALU_DEP_1)
	v_add3_u32 v66, v10, v66, v67
	v_ashrrev_i32_e32 v67, 31, v66
.LBB2_882:                              ;   Parent Loop BB2_47 Depth=1
                                        ;     Parent Loop BB2_753 Depth=2
                                        ;       Parent Loop BB2_756 Depth=3
                                        ; =>      This Inner Loop Header: Depth=4
	v_add_co_u32 v129, vcc_lo, v66, v51
	s_wait_alu 0xfffd
	s_delay_alu instid0(VALU_DEP_2)
	v_add_co_ci_u32_e64 v130, null, v67, v52, vcc_lo
	v_sub_nc_u32_e32 v11, v11, v81
	s_clause 0x7
	flat_load_u8 v131, v[129:130] th:TH_LOAD_NT
	flat_load_u8 v132, v[129:130] offset:32 th:TH_LOAD_NT
	flat_load_u8 v133, v[129:130] offset:64 th:TH_LOAD_NT
	;; [unrolled: 1-line block ×7, first 2 shown]
	v_add_co_u32 v129, vcc_lo, v66, v53
	s_wait_alu 0xfffd
	v_add_co_ci_u32_e64 v130, null, v67, v54, vcc_lo
	v_add_co_u32 v51, vcc_lo, v51, v97
	s_wait_alu 0xfffd
	v_add_co_ci_u32_e64 v52, null, 0, v52, vcc_lo
	;; [unrolled: 3-line block ×3, first 2 shown]
	v_cmp_gt_i32_e32 vcc_lo, 1, v11
	s_wait_loadcnt_dscnt 0x707
	flat_store_b8 v[129:130], v131 th:TH_STORE_NT
	s_wait_loadcnt_dscnt 0x607
	flat_store_b8 v[129:130], v132 offset:32 th:TH_STORE_NT
	s_wait_loadcnt_dscnt 0x507
	flat_store_b8 v[129:130], v133 offset:64 th:TH_STORE_NT
	;; [unrolled: 2-line block ×7, first 2 shown]
	s_wait_alu 0xfffe
	s_or_b32 s15, vcc_lo, s15
	s_wait_alu 0xfffe
	s_and_not1_b32 exec_lo, exec_lo, s15
	s_cbranch_execnz .LBB2_882
; %bb.883:                              ;   in Loop: Header=BB2_756 Depth=3
	s_or_b32 exec_lo, exec_lo, s15
.LBB2_884:                              ;   in Loop: Header=BB2_756 Depth=3
	s_wait_alu 0xfffe
	s_or_b32 exec_lo, exec_lo, s13
	v_lshlrev_b32_e32 v51, 8, v65
	s_delay_alu instid0(VALU_DEP_1)
	v_cmp_ne_u32_e32 vcc_lo, v8, v51
	s_and_b32 exec_lo, exec_lo, vcc_lo
	s_cbranch_execz .LBB2_888
; %bb.885:                              ;   in Loop: Header=BB2_756 Depth=3
	v_add_nc_u32_e32 v52, v9, v64
	v_lshlrev_b32_e32 v11, 5, v11
	s_delay_alu instid0(VALU_DEP_2) | instskip(NEXT) | instid1(VALU_DEP_1)
	v_and_b32_e32 v52, 0xffffffe0, v52
	v_sub_nc_u32_e32 v9, v9, v52
	s_delay_alu instid0(VALU_DEP_1) | instskip(NEXT) | instid1(VALU_DEP_1)
	v_sub_nc_u32_e32 v9, v9, v11
	v_add_nc_u32_e32 v51, v51, v9
	s_delay_alu instid0(VALU_DEP_1) | instskip(NEXT) | instid1(VALU_DEP_1)
	v_sub_nc_u32_e32 v11, v8, v51
	v_cmp_lt_i32_e32 vcc_lo, 0, v11
	s_and_b32 exec_lo, exec_lo, vcc_lo
	s_cbranch_execz .LBB2_888
; %bb.886:                              ;   in Loop: Header=BB2_756 Depth=3
	s_trap 2
	ds_load_b64 v[8:9], v0
	v_add_nc_u32_e32 v10, v51, v10
	s_mov_b32 s15, 0
	s_delay_alu instid0(VALU_DEP_1)
	v_ashrrev_i32_e32 v51, 31, v10
.LBB2_887:                              ;   Parent Loop BB2_47 Depth=1
                                        ;     Parent Loop BB2_753 Depth=2
                                        ;       Parent Loop BB2_756 Depth=3
                                        ; =>      This Inner Loop Header: Depth=4
	s_wait_dscnt 0x0
	v_add_co_u32 v52, vcc_lo, v8, v10
	s_wait_alu 0xfffd
	s_delay_alu instid0(VALU_DEP_2)
	v_add_co_ci_u32_e64 v53, null, v9, v51, vcc_lo
	v_sub_nc_u32_e32 v11, v11, v82
	v_add_co_u32 v10, s13, v10, v82
	flat_load_u8 v54, v[52:53] th:TH_LOAD_NT
	s_wait_alu 0xf1ff
	v_add_co_ci_u32_e64 v51, null, 0, v51, s13
	v_cmp_gt_i32_e32 vcc_lo, 1, v11
	s_wait_alu 0xfffe
	s_or_b32 s15, vcc_lo, s15
	s_wait_loadcnt_dscnt 0x0
	flat_store_b8 v[52:53], v54 th:TH_STORE_NT
	s_wait_alu 0xfffe
	s_and_not1_b32 exec_lo, exec_lo, s15
	s_cbranch_execnz .LBB2_887
.LBB2_888:                              ;   in Loop: Header=BB2_756 Depth=3
	s_wait_alu 0xfffe
	s_or_b32 exec_lo, exec_lo, s14
.LBB2_889:                              ;   in Loop: Header=BB2_756 Depth=3
	v_cmp_lt_i32_e64 s13, 0, v128
	s_and_saveexec_b32 s14, s2
	s_cbranch_execz .LBB2_908
.LBB2_890:                              ;   in Loop: Header=BB2_756 Depth=3
	s_and_saveexec_b32 s15, s3
	s_wait_alu 0xfffe
	s_xor_b32 s15, exec_lo, s15
	s_cbranch_execz .LBB2_905
; %bb.891:                              ;   in Loop: Header=BB2_756 Depth=3
	s_and_saveexec_b32 s16, s6
	s_cbranch_execz .LBB2_904
; %bb.892:                              ;   in Loop: Header=BB2_756 Depth=3
	s_mov_b32 s23, exec_lo
	s_mov_b32 s17, exec_lo
	s_wait_alu 0xfffe
	v_mbcnt_lo_u32_b32 v8, s23, 0
	s_wait_storecnt 0x0
	s_wait_loadcnt_dscnt 0x0
	global_inv scope:SCOPE_DEV
	v_cmpx_eq_u32_e32 0, v8
	s_cbranch_execz .LBB2_894
; %bb.893:                              ;   in Loop: Header=BB2_756 Depth=3
	s_bcnt1_i32_b32 s23, s23
	s_wait_alu 0xfffe
	v_dual_mov_b32 v9, v2 :: v_dual_mov_b32 v8, s23
	s_wait_loadcnt 0x0
	ds_add_u64 v0, v[8:9]
	s_trap 2
.LBB2_894:                              ;   in Loop: Header=BB2_756 Depth=3
	s_or_b32 exec_lo, exec_lo, s17
	s_trap 2
	ds_load_b64 v[8:9], v0
	s_wait_dscnt 0x0
	global_inv scope:SCOPE_SE
	v_add_co_u32 v12, vcc_lo, v12, v81
	s_wait_alu 0xfffd
	v_add_co_ci_u32_e64 v13, null, 0, v13, vcc_lo
	s_mov_b32 s17, exec_lo
	v_cmpx_lt_u64_e64 v[8:9], v[12:13]
	s_cbranch_execz .LBB2_903
; %bb.895:                              ;   in Loop: Header=BB2_756 Depth=3
	s_mov_b32 s23, 0
	s_mov_b32 s26, 0
                                        ; implicit-def: $sgpr24
                                        ; implicit-def: $sgpr25
	s_branch .LBB2_897
.LBB2_896:                              ;   in Loop: Header=BB2_897 Depth=4
	s_wait_alu 0xfffe
	s_or_b32 exec_lo, exec_lo, s28
	s_delay_alu instid0(SALU_CYCLE_1)
	s_and_b32 s27, exec_lo, s29
	s_wait_alu 0xfffe
	s_or_b32 s23, s27, s23
	s_and_not1_b32 s24, s24, exec_lo
	s_and_b32 s27, s25, exec_lo
	s_wait_alu 0xfffe
	s_or_b32 s24, s24, s27
	s_and_not1_b32 exec_lo, exec_lo, s23
	s_cbranch_execz .LBB2_901
.LBB2_897:                              ;   Parent Loop BB2_47 Depth=1
                                        ;     Parent Loop BB2_753 Depth=2
                                        ;       Parent Loop BB2_756 Depth=3
                                        ; =>      This Inner Loop Header: Depth=4
	s_wait_alu 0xfffe
	s_add_co_i32 s26, s26, 1
	s_wait_alu 0xfffe
	s_cmp_lg_u32 s26, 0x2710
	s_cselect_b32 s27, -1, 0
	s_wait_alu 0xfffe
	s_and_b32 vcc_lo, exec_lo, s27
	s_wait_alu 0xfffe
	s_cbranch_vccz .LBB2_899
; %bb.898:                              ;   in Loop: Header=BB2_897 Depth=4
	s_mov_b32 s29, -1
	s_or_b32 s25, s25, exec_lo
	s_and_saveexec_b32 s28, s27
	s_cbranch_execz .LBB2_896
	s_branch .LBB2_900
.LBB2_899:                              ;   in Loop: Header=BB2_897 Depth=4
	s_trap 2
	ds_load_b64 v[8:9], v0
	s_and_not1_b32 s27, s27, exec_lo
	s_mov_b32 s26, 0
	s_wait_loadcnt_dscnt 0x0
	flat_load_b32 v8, v[8:9] scope:SCOPE_SYS
	s_wait_loadcnt_dscnt 0x0
	global_inv scope:SCOPE_SYS
	v_cmp_eq_u32_e32 vcc_lo, 0, v8
	s_and_b32 s28, vcc_lo, exec_lo
	s_wait_alu 0xfffe
	s_or_b32 s27, s27, s28
	s_mov_b32 s29, -1
	s_or_b32 s25, s25, exec_lo
	s_wait_alu 0xfffe
	s_and_saveexec_b32 s28, s27
	s_cbranch_execz .LBB2_896
.LBB2_900:                              ;   in Loop: Header=BB2_897 Depth=4
	s_sleep 1
	s_trap 2
	ds_load_b64 v[8:9], v0
	s_wait_dscnt 0x0
	global_inv scope:SCOPE_SE
	s_wait_alu 0xfffe
	s_and_not1_b32 s25, s25, exec_lo
	v_cmp_ge_u64_e32 vcc_lo, v[8:9], v[12:13]
	s_or_not1_b32 s29, vcc_lo, exec_lo
	s_branch .LBB2_896
.LBB2_901:                              ;   in Loop: Header=BB2_756 Depth=3
	s_or_b32 exec_lo, exec_lo, s23
	s_wait_alu 0xfffe
	s_and_saveexec_b32 s23, s24
	s_wait_alu 0xfffe
	s_xor_b32 s23, exec_lo, s23
	s_cbranch_execz .LBB2_903
; %bb.902:                              ;   in Loop: Header=BB2_756 Depth=3
	ds_store_b32 v0, v84
	s_trap 2
.LBB2_903:                              ;   in Loop: Header=BB2_756 Depth=3
	s_wait_alu 0xfffe
	s_or_b32 exec_lo, exec_lo, s17
	;;#ASMSTART
	s_wakeup
	;;#ASMEND
.LBB2_904:                              ;   in Loop: Header=BB2_756 Depth=3
	s_wait_alu 0xfffe
	s_or_b32 exec_lo, exec_lo, s16
.LBB2_905:                              ;   in Loop: Header=BB2_756 Depth=3
	s_wait_alu 0xfffe
	s_and_not1_saveexec_b32 s15, s15
	s_cbranch_execz .LBB2_907
; %bb.906:                              ;   in Loop: Header=BB2_756 Depth=3
	s_wait_storecnt 0x0
	s_wait_loadcnt_dscnt 0x0
	global_inv scope:SCOPE_DEV
	s_barrier_signal -1
	s_barrier_wait -1
.LBB2_907:                              ;   in Loop: Header=BB2_756 Depth=3
	s_wait_alu 0xfffe
	s_or_b32 exec_lo, exec_lo, s15
.LBB2_908:                              ;   in Loop: Header=BB2_756 Depth=3
	s_wait_alu 0xfffe
	s_or_b32 exec_lo, exec_lo, s14
	v_and_b32_e32 v8, 16, v70
	s_and_saveexec_b32 s14, s7
	s_wait_alu 0xfffe
	s_xor_b32 s14, exec_lo, s14
	s_cbranch_execz .LBB2_912
; %bb.909:                              ;   in Loop: Header=BB2_756 Depth=3
	v_and_b32_e32 v8, 16, v70
	s_delay_alu instid0(VALU_DEP_1)
	v_cmp_ne_u32_e32 vcc_lo, 0, v8
	v_and_b32_e32 v8, 16, v70
	s_and_b32 s15, vcc_lo, s13
	s_wait_alu 0xfffe
	s_and_saveexec_b32 s13, s15
	s_cbranch_execz .LBB2_911
; %bb.910:                              ;   in Loop: Header=BB2_756 Depth=3
	v_mov_b32_e32 v8, 1
	global_wb scope:SCOPE_SYS
	s_wait_storecnt 0x0
	s_wait_loadcnt_dscnt 0x0
	global_inv scope:SCOPE_SYS
.LBB2_911:                              ;   in Loop: Header=BB2_756 Depth=3
	s_wait_alu 0xfffe
	s_or_b32 exec_lo, exec_lo, s13
.LBB2_912:                              ;   in Loop: Header=BB2_756 Depth=3
	s_wait_alu 0xfffe
	s_and_not1_saveexec_b32 s13, s14
	s_cbranch_execz .LBB2_931
; %bb.913:                              ;   in Loop: Header=BB2_756 Depth=3
	s_and_saveexec_b32 s14, s3
	s_wait_alu 0xfffe
	s_xor_b32 s14, exec_lo, s14
	s_cbranch_execz .LBB2_928
; %bb.914:                              ;   in Loop: Header=BB2_756 Depth=3
	s_and_saveexec_b32 s15, s6
	s_cbranch_execz .LBB2_927
; %bb.915:                              ;   in Loop: Header=BB2_756 Depth=3
	s_mov_b32 s17, exec_lo
	s_mov_b32 s16, exec_lo
	s_wait_alu 0xfffe
	v_mbcnt_lo_u32_b32 v9, s17, 0
	;;#ASMSTART
	s_waitcnt lgkmcnt(0) vmcnt(0)
	;;#ASMEND
	s_delay_alu instid0(VALU_DEP_1)
	v_cmpx_eq_u32_e32 0, v9
	s_cbranch_execz .LBB2_917
; %bb.916:                              ;   in Loop: Header=BB2_756 Depth=3
	s_bcnt1_i32_b32 s17, s17
	s_wait_alu 0xfffe
	v_dual_mov_b32 v10, v2 :: v_dual_mov_b32 v9, s17
	s_wait_storecnt 0x0
	s_wait_loadcnt_dscnt 0x0
	ds_add_u64 v0, v[9:10]
	s_trap 2
.LBB2_917:                              ;   in Loop: Header=BB2_756 Depth=3
	s_or_b32 exec_lo, exec_lo, s16
	s_trap 2
	ds_load_b64 v[9:10], v0
	s_wait_dscnt 0x0
	global_inv scope:SCOPE_SE
	v_add_co_u32 v12, vcc_lo, v12, v81
	s_wait_alu 0xfffd
	v_add_co_ci_u32_e64 v13, null, 0, v13, vcc_lo
	s_mov_b32 s16, exec_lo
	v_cmpx_lt_u64_e64 v[9:10], v[12:13]
	s_cbranch_execz .LBB2_926
; %bb.918:                              ;   in Loop: Header=BB2_756 Depth=3
	s_mov_b32 s17, 0
	s_mov_b32 s25, 0
                                        ; implicit-def: $sgpr23
                                        ; implicit-def: $sgpr24
	s_branch .LBB2_920
.LBB2_919:                              ;   in Loop: Header=BB2_920 Depth=4
	s_wait_alu 0xfffe
	s_or_b32 exec_lo, exec_lo, s27
	s_delay_alu instid0(SALU_CYCLE_1)
	s_and_b32 s26, exec_lo, s28
	s_wait_alu 0xfffe
	s_or_b32 s17, s26, s17
	s_and_not1_b32 s23, s23, exec_lo
	s_and_b32 s26, s24, exec_lo
	s_wait_alu 0xfffe
	s_or_b32 s23, s23, s26
	s_and_not1_b32 exec_lo, exec_lo, s17
	s_cbranch_execz .LBB2_924
.LBB2_920:                              ;   Parent Loop BB2_47 Depth=1
                                        ;     Parent Loop BB2_753 Depth=2
                                        ;       Parent Loop BB2_756 Depth=3
                                        ; =>      This Inner Loop Header: Depth=4
	s_wait_alu 0xfffe
	s_add_co_i32 s25, s25, 1
	s_wait_alu 0xfffe
	s_cmp_lg_u32 s25, 0x2710
	s_cselect_b32 s26, -1, 0
	s_wait_alu 0xfffe
	s_and_b32 vcc_lo, exec_lo, s26
	s_wait_alu 0xfffe
	s_cbranch_vccz .LBB2_922
; %bb.921:                              ;   in Loop: Header=BB2_920 Depth=4
	s_mov_b32 s28, -1
	s_or_b32 s24, s24, exec_lo
	s_and_saveexec_b32 s27, s26
	s_cbranch_execz .LBB2_919
	s_branch .LBB2_923
.LBB2_922:                              ;   in Loop: Header=BB2_920 Depth=4
	s_trap 2
	ds_load_b64 v[9:10], v0
	s_and_not1_b32 s26, s26, exec_lo
	s_mov_b32 s25, 0
	s_wait_storecnt 0x0
	s_wait_loadcnt_dscnt 0x0
	flat_load_b32 v9, v[9:10] scope:SCOPE_SYS
	s_wait_loadcnt_dscnt 0x0
	global_inv scope:SCOPE_SYS
	v_cmp_eq_u32_e32 vcc_lo, 0, v9
	s_and_b32 s27, vcc_lo, exec_lo
	s_wait_alu 0xfffe
	s_or_b32 s26, s26, s27
	s_mov_b32 s28, -1
	s_or_b32 s24, s24, exec_lo
	s_wait_alu 0xfffe
	s_and_saveexec_b32 s27, s26
	s_cbranch_execz .LBB2_919
.LBB2_923:                              ;   in Loop: Header=BB2_920 Depth=4
	s_sleep 1
	s_trap 2
	ds_load_b64 v[9:10], v0
	s_wait_dscnt 0x0
	global_inv scope:SCOPE_SE
	s_wait_alu 0xfffe
	s_and_not1_b32 s24, s24, exec_lo
	v_cmp_ge_u64_e32 vcc_lo, v[9:10], v[12:13]
	s_or_not1_b32 s28, vcc_lo, exec_lo
	s_branch .LBB2_919
.LBB2_924:                              ;   in Loop: Header=BB2_756 Depth=3
	s_or_b32 exec_lo, exec_lo, s17
	s_wait_alu 0xfffe
	s_and_saveexec_b32 s17, s23
	s_wait_alu 0xfffe
	s_xor_b32 s17, exec_lo, s17
	s_cbranch_execz .LBB2_926
; %bb.925:                              ;   in Loop: Header=BB2_756 Depth=3
	ds_store_b32 v0, v84
	s_trap 2
.LBB2_926:                              ;   in Loop: Header=BB2_756 Depth=3
	s_wait_alu 0xfffe
	s_or_b32 exec_lo, exec_lo, s16
	;;#ASMSTART
	s_wakeup
	;;#ASMEND
.LBB2_927:                              ;   in Loop: Header=BB2_756 Depth=3
	s_wait_alu 0xfffe
	s_or_b32 exec_lo, exec_lo, s15
.LBB2_928:                              ;   in Loop: Header=BB2_756 Depth=3
	s_wait_alu 0xfffe
	s_and_not1_saveexec_b32 s14, s14
	s_cbranch_execz .LBB2_930
; %bb.929:                              ;   in Loop: Header=BB2_756 Depth=3
	;;#ASMSTART
	s_waitcnt lgkmcnt(0) vmcnt(0)
	;;#ASMEND
	s_barrier_signal -1
	s_barrier_wait -1
.LBB2_930:                              ;   in Loop: Header=BB2_756 Depth=3
	s_wait_alu 0xfffe
	s_or_b32 exec_lo, exec_lo, s14
.LBB2_931:                              ;   in Loop: Header=BB2_756 Depth=3
	s_wait_alu 0xfffe
	s_or_b32 exec_lo, exec_lo, s13
	v_cmp_ne_u32_e32 vcc_lo, 0, v8
	s_xor_b32 s13, s4, -1
	s_wait_alu 0xfffe
	s_and_b32 s14, vcc_lo, s13
	s_wait_alu 0xfffe
	s_and_saveexec_b32 s13, s14
	s_cbranch_execz .LBB2_933
; %bb.932:                              ;   in Loop: Header=BB2_756 Depth=3
	global_wb scope:SCOPE_SYS
	s_wait_storecnt 0x0
	s_wait_loadcnt_dscnt 0x0
	flat_store_b32 v[24:25], v84 scope:SCOPE_SYS
.LBB2_933:                              ;   in Loop: Header=BB2_756 Depth=3
	s_wait_alu 0xfffe
	s_or_b32 exec_lo, exec_lo, s13
	v_and_b32_e32 v8, 48, v70
	s_mov_b32 s13, exec_lo
	s_delay_alu instid0(VALU_DEP_1)
	v_cmpx_ne_u32_e32 0, v8
	s_cbranch_execz .LBB2_755
; %bb.934:                              ;   in Loop: Header=BB2_756 Depth=3
	v_add_co_u32 v38, vcc_lo, v38, 2
	s_wait_alu 0xfffd
	v_add_co_ci_u32_e64 v39, null, 0, v39, vcc_lo
	global_wb scope:SCOPE_SYS
	s_wait_storecnt 0x0
	s_wait_loadcnt_dscnt 0x0
	flat_store_b64 v[20:21], v[38:39] scope:SCOPE_SYS
	s_branch .LBB2_755
.LBB2_935:                              ;   in Loop: Header=BB2_753 Depth=2
	s_or_b32 exec_lo, exec_lo, s20
.LBB2_936:                              ;   in Loop: Header=BB2_753 Depth=2
	s_wait_alu 0xfffe
	s_or_b32 exec_lo, exec_lo, s19
	s_delay_alu instid0(SALU_CYCLE_1)
	s_mov_b32 s14, exec_lo
	v_cmpx_gt_i32_e32 2, v10
	s_cbranch_execz .LBB2_1012
; %bb.937:                              ;   in Loop: Header=BB2_753 Depth=2
	v_cmp_eq_u32_e64 s16, 0, v10
	s_mov_b32 s15, 0
	s_branch .LBB2_939
.LBB2_938:                              ;   in Loop: Header=BB2_939 Depth=3
	s_wait_alu 0xfffe
	s_or_b32 exec_lo, exec_lo, s13
	v_add_nc_u32_e32 v55, v50, v55
	s_mov_b32 s16, 0
	s_and_not1_b32 exec_lo, exec_lo, s15
	s_cbranch_execz .LBB2_1011
.LBB2_939:                              ;   Parent Loop BB2_47 Depth=1
                                        ;     Parent Loop BB2_753 Depth=2
                                        ; =>    This Loop Header: Depth=3
                                        ;         Child Loop BB2_945 Depth 4
                                        ;         Child Loop BB2_973 Depth 4
	;; [unrolled: 1-line block ×3, first 2 shown]
	s_delay_alu instid0(VALU_DEP_1) | instskip(SKIP_2) | instid1(VALU_DEP_2)
	v_sub_nc_u32_e32 v8, v3, v55
	v_and_b32_e32 v9, 12, v70
	s_mov_b32 s17, exec_lo
	v_min_i32_e32 v50, v50, v8
	s_delay_alu instid0(VALU_DEP_2)
	v_cmpx_ne_u32_e32 0, v9
	s_cbranch_execz .LBB2_965
; %bb.940:                              ;   in Loop: Header=BB2_939 Depth=3
	v_and_b32_e32 v53, 8, v70
	s_mov_b32 s19, exec_lo
	s_delay_alu instid0(VALU_DEP_1)
	v_add_co_u32 v10, vcc_lo, v26, v53
	s_wait_alu 0xfffd
	v_add_co_ci_u32_e64 v11, null, 0, v27, vcc_lo
	v_add_co_u32 v8, vcc_lo, v38, 2
	s_wait_alu 0xfffd
	v_add_co_ci_u32_e64 v9, null, 0, v39, vcc_lo
	s_delay_alu instid0(VALU_DEP_1)
	v_cmpx_lt_u64_e64 v[10:11], v[8:9]
	s_cbranch_execz .LBB2_952
; %bb.941:                              ;   in Loop: Header=BB2_939 Depth=3
	v_and_b32_e32 v10, 64, v70
	s_mov_b32 s20, 0
	s_mov_b32 s24, 0
                                        ; implicit-def: $sgpr21
                                        ; implicit-def: $sgpr22
                                        ; implicit-def: $sgpr23
	s_delay_alu instid0(VALU_DEP_1)
	v_cmp_eq_u32_e32 vcc_lo, 0, v10
	s_branch .LBB2_945
.LBB2_942:                              ;   in Loop: Header=BB2_945 Depth=4
	v_add_co_u32 v51, s13, v26, v53
	s_wait_alu 0xf1ff
	v_add_co_ci_u32_e64 v52, null, 0, v27, s13
	s_or_b32 s27, s27, exec_lo
	v_cmp_ge_u64_e64 s13, v[51:52], v[8:9]
	s_or_not1_b32 s26, s13, exec_lo
.LBB2_943:                              ;   in Loop: Header=BB2_945 Depth=4
	s_wait_alu 0xfffe
	s_or_b32 exec_lo, exec_lo, s29
	s_delay_alu instid0(SALU_CYCLE_1)
	s_and_not1_b32 s13, s23, exec_lo
	s_and_b32 s23, s27, exec_lo
	s_and_not1_b32 s22, s22, exec_lo
	s_and_b32 s26, s26, exec_lo
	s_wait_alu 0xfffe
	s_or_b32 s23, s13, s23
	s_or_b32 s22, s22, s26
.LBB2_944:                              ;   in Loop: Header=BB2_945 Depth=4
	s_wait_alu 0xfffe
	s_or_b32 exec_lo, exec_lo, s25
	s_delay_alu instid0(SALU_CYCLE_1)
	s_and_b32 s13, exec_lo, s22
	s_wait_alu 0xfffe
	s_or_b32 s20, s13, s20
	s_and_not1_b32 s13, s21, exec_lo
	s_and_b32 s21, s23, exec_lo
	s_wait_alu 0xfffe
	s_or_b32 s21, s13, s21
	s_and_not1_b32 exec_lo, exec_lo, s20
	s_cbranch_execz .LBB2_949
.LBB2_945:                              ;   Parent Loop BB2_47 Depth=1
                                        ;     Parent Loop BB2_753 Depth=2
                                        ;       Parent Loop BB2_939 Depth=3
                                        ; =>      This Inner Loop Header: Depth=4
	s_sleep 1
	flat_load_b64 v[26:27], v[20:21] scope:SCOPE_SYS
	s_wait_loadcnt_dscnt 0x0
	global_inv scope:SCOPE_SYS
	s_or_b32 s23, s23, exec_lo
	s_or_b32 s22, s22, exec_lo
                                        ; implicit-def: $vgpr10
	s_and_saveexec_b32 s25, vcc_lo
	s_cbranch_execz .LBB2_944
; %bb.946:                              ;   in Loop: Header=BB2_945 Depth=4
	s_wait_alu 0xfffe
	s_cmp_lt_i32 s24, 0x270f
	s_mov_b32 s26, -1
	s_cselect_b32 s28, -1, 0
	s_cmp_gt_i32 s24, 0x270e
	s_cbranch_scc0 .LBB2_948
; %bb.947:                              ;   in Loop: Header=BB2_945 Depth=4
	s_trap 2
	ds_load_b64 v[10:11], v0
	s_wait_alu 0xfffe
	s_and_not1_b32 s24, s28, exec_lo
	s_mov_b32 s27, 0
	s_wait_storecnt 0x0
	s_wait_loadcnt_dscnt 0x0
	flat_load_b32 v10, v[10:11] scope:SCOPE_SYS
	s_wait_loadcnt_dscnt 0x0
	global_inv scope:SCOPE_SYS
	v_cmp_eq_u32_e64 s13, 0, v10
	s_and_b32 s13, s13, exec_lo
	s_wait_alu 0xfffe
	s_or_b32 s28, s24, s13
	s_mov_b32 s24, 0
	s_wait_alu 0xfffe
	s_and_saveexec_b32 s29, s28
	s_cbranch_execz .LBB2_943
	s_branch .LBB2_942
.LBB2_948:                              ;   in Loop: Header=BB2_945 Depth=4
	s_add_co_i32 s24, s24, 1
	s_mov_b32 s27, -1
                                        ; implicit-def: $vgpr10
	s_wait_alu 0xfffe
	s_and_saveexec_b32 s29, s28
	s_cbranch_execz .LBB2_943
	s_branch .LBB2_942
.LBB2_949:                              ;   in Loop: Header=BB2_939 Depth=3
	s_or_b32 exec_lo, exec_lo, s20
	s_wait_alu 0xfffe
	s_xor_b32 s13, s21, -1
	s_wait_alu 0xfffe
	s_and_saveexec_b32 s20, s13
	s_wait_alu 0xfffe
	s_xor_b32 s13, exec_lo, s20
	s_cbranch_execz .LBB2_951
; %bb.950:                              ;   in Loop: Header=BB2_939 Depth=3
	v_or_b32_e32 v70, 64, v70
	s_wait_loadcnt 0x0
	s_wait_storecnt 0x0
	ds_store_b32 v0, v10
	s_trap 2
.LBB2_951:                              ;   in Loop: Header=BB2_939 Depth=3
	s_wait_alu 0xfffe
	s_or_b32 exec_lo, exec_lo, s13
.LBB2_952:                              ;   in Loop: Header=BB2_939 Depth=3
	s_wait_alu 0xfffe
	s_or_b32 exec_lo, exec_lo, s19
	v_and_b32_e32 v10, 0x108, v70
	;;#ASMSTART
	s_wakeup
	;;#ASMEND
	s_delay_alu instid0(VALU_DEP_1)
	v_cmp_ne_u32_e32 vcc_lo, 0x108, v10
                                        ; implicit-def: $vgpr10_vgpr11
	s_and_saveexec_b32 s13, vcc_lo
	s_wait_alu 0xfffe
	s_xor_b32 s13, exec_lo, s13
; %bb.953:                              ;   in Loop: Header=BB2_939 Depth=3
	v_dual_mov_b32 v11, v2 :: v_dual_and_b32 v10, 7, v38
                                        ; implicit-def: $vgpr38_vgpr39
; %bb.954:                              ;   in Loop: Header=BB2_939 Depth=3
	s_wait_alu 0xfffe
	s_and_not1_saveexec_b32 s13, s13
	s_cbranch_execz .LBB2_956
; %bb.955:                              ;   in Loop: Header=BB2_939 Depth=3
	v_dual_mov_b32 v11, v2 :: v_dual_and_b32 v10, 7, v38
	v_ashrrev_i32_e32 v51, 31, v50
	s_delay_alu instid0(VALU_DEP_2)
	v_mad_co_u64_u32 v[38:39], null, v10, 24, v[6:7]
	flat_store_b64 v[38:39], v[50:51] offset:8
.LBB2_956:                              ;   in Loop: Header=BB2_939 Depth=3
	s_wait_alu 0xfffe
	s_or_b32 exec_lo, exec_lo, s13
	v_and_b32_e32 v38, 0x100, v70
	s_mov_b32 s13, -1
	s_delay_alu instid0(VALU_DEP_1)
	v_cmp_ne_u32_e32 vcc_lo, 0, v38
                                        ; implicit-def: $vgpr38_vgpr39
	s_and_saveexec_b32 s19, vcc_lo
	s_cbranch_execz .LBB2_960
; %bb.957:                              ;   in Loop: Header=BB2_939 Depth=3
	v_mad_co_u64_u32 v[51:52], null, v10, 24, v[6:7]
	s_delay_alu instid0(VALU_DEP_1) | instskip(NEXT) | instid1(VALU_DEP_1)
	v_mov_b32_e32 v38, v52
	v_mad_co_u64_u32 v[38:39], null, v11, 24, v[38:39]
	s_delay_alu instid0(VALU_DEP_1)
	v_mov_b32_e32 v52, v38
	flat_load_b32 v38, v[51:52]
	s_wait_loadcnt_dscnt 0x0
	v_cmp_eq_u32_e64 s13, 1, v38
	v_cmp_ne_u32_e32 vcc_lo, 1, v38
                                        ; implicit-def: $vgpr38_vgpr39
	s_wait_alu 0xfffe
	s_and_saveexec_b32 s20, s13
	s_cbranch_execz .LBB2_959
; %bb.958:                              ;   in Loop: Header=BB2_939 Depth=3
	flat_load_b32 v38, v[51:52] offset:4 scope:SCOPE_SYS
	s_wait_loadcnt_dscnt 0x0
	v_ashrrev_i32_e32 v39, 31, v38
.LBB2_959:                              ;   in Loop: Header=BB2_939 Depth=3
	s_wait_alu 0xfffe
	s_or_b32 exec_lo, exec_lo, s20
	s_delay_alu instid0(SALU_CYCLE_1)
	s_or_not1_b32 s13, vcc_lo, exec_lo
.LBB2_960:                              ;   in Loop: Header=BB2_939 Depth=3
	s_wait_alu 0xfffe
	s_or_b32 exec_lo, exec_lo, s19
	s_and_saveexec_b32 s19, s13
; %bb.961:                              ;   in Loop: Header=BB2_939 Depth=3
	v_mul_lo_u32 v11, v11, v71
	v_mul_lo_u32 v51, v10, v80
	v_mad_co_u64_u32 v[38:39], null, v10, v71, 0
	s_delay_alu instid0(VALU_DEP_1)
	v_add3_u32 v39, v39, v51, v11
; %bb.962:                              ;   in Loop: Header=BB2_939 Depth=3
	s_wait_alu 0xfffe
	s_or_b32 exec_lo, exec_lo, s19
	v_cmp_eq_u32_e32 vcc_lo, 0, v53
	v_and_b32_e32 v52, 0x2000, v70
	s_mov_b32 s13, exec_lo
	s_wait_alu 0xfffd
	v_cndmask_b32_e32 v51, 0xd0, v86, vcc_lo
	v_add_co_u32 v10, vcc_lo, v22, v38
	s_wait_alu 0xfffd
	v_add_co_ci_u32_e64 v11, null, v23, v39, vcc_lo
	s_delay_alu instid0(VALU_DEP_3)
	v_add_nc_u32_e32 v38, v0, v51
	ds_store_b64 v38, v[10:11] offset:584
	v_cmpx_ne_u32_e32 0, v52
	s_cbranch_execz .LBB2_964
; %bb.963:                              ;   in Loop: Header=BB2_939 Depth=3
	ds_load_b64 v[10:11], v0 offset:872
	s_wait_dscnt 0x0
	v_add_co_u32 v10, vcc_lo, v10, 1
	s_wait_alu 0xfffd
	v_add_co_ci_u32_e64 v11, null, 0, v11, vcc_lo
	ds_store_b64 v0, v[10:11] offset:872
.LBB2_964:                              ;   in Loop: Header=BB2_939 Depth=3
	s_wait_alu 0xfffe
	s_or_b32 exec_lo, exec_lo, s13
	v_dual_mov_b32 v39, v9 :: v_dual_mov_b32 v38, v8
.LBB2_965:                              ;   in Loop: Header=BB2_939 Depth=3
	s_wait_alu 0xfffe
	s_or_b32 exec_lo, exec_lo, s17
	s_xor_b32 s13, s16, -1
	s_wait_alu 0xfffe
	s_and_b32 s13, exec_lo, s13
	s_wait_alu 0xfffe
	s_or_b32 s15, s13, s15
	s_and_saveexec_b32 s13, s2
	s_cbranch_execz .LBB2_984
; %bb.966:                              ;   in Loop: Header=BB2_939 Depth=3
	s_and_saveexec_b32 s16, s3
	s_wait_alu 0xfffe
	s_xor_b32 s16, exec_lo, s16
	s_cbranch_execz .LBB2_981
; %bb.967:                              ;   in Loop: Header=BB2_939 Depth=3
	s_and_saveexec_b32 s17, s6
	s_cbranch_execz .LBB2_980
; %bb.968:                              ;   in Loop: Header=BB2_939 Depth=3
	s_mov_b32 s20, exec_lo
	s_mov_b32 s19, exec_lo
	s_wait_alu 0xfffe
	v_mbcnt_lo_u32_b32 v8, s20, 0
	s_wait_storecnt 0x0
	s_wait_loadcnt_dscnt 0x0
	global_inv scope:SCOPE_DEV
	v_cmpx_eq_u32_e32 0, v8
	s_cbranch_execz .LBB2_970
; %bb.969:                              ;   in Loop: Header=BB2_939 Depth=3
	s_bcnt1_i32_b32 s20, s20
	s_wait_alu 0xfffe
	v_dual_mov_b32 v9, v2 :: v_dual_mov_b32 v8, s20
	s_wait_loadcnt 0x0
	ds_add_u64 v0, v[8:9]
	s_trap 2
.LBB2_970:                              ;   in Loop: Header=BB2_939 Depth=3
	s_or_b32 exec_lo, exec_lo, s19
	s_trap 2
	ds_load_b64 v[8:9], v0
	s_wait_dscnt 0x0
	global_inv scope:SCOPE_SE
	v_add_co_u32 v12, vcc_lo, v12, v81
	s_wait_alu 0xfffd
	v_add_co_ci_u32_e64 v13, null, 0, v13, vcc_lo
	s_mov_b32 s19, exec_lo
	v_cmpx_lt_u64_e64 v[8:9], v[12:13]
	s_cbranch_execz .LBB2_979
; %bb.971:                              ;   in Loop: Header=BB2_939 Depth=3
	s_mov_b32 s20, 0
	s_mov_b32 s23, 0
                                        ; implicit-def: $sgpr21
                                        ; implicit-def: $sgpr22
	s_branch .LBB2_973
.LBB2_972:                              ;   in Loop: Header=BB2_973 Depth=4
	s_wait_alu 0xfffe
	s_or_b32 exec_lo, exec_lo, s25
	s_delay_alu instid0(SALU_CYCLE_1)
	s_and_b32 s24, exec_lo, s26
	s_wait_alu 0xfffe
	s_or_b32 s20, s24, s20
	s_and_not1_b32 s21, s21, exec_lo
	s_and_b32 s24, s22, exec_lo
	s_wait_alu 0xfffe
	s_or_b32 s21, s21, s24
	s_and_not1_b32 exec_lo, exec_lo, s20
	s_cbranch_execz .LBB2_977
.LBB2_973:                              ;   Parent Loop BB2_47 Depth=1
                                        ;     Parent Loop BB2_753 Depth=2
                                        ;       Parent Loop BB2_939 Depth=3
                                        ; =>      This Inner Loop Header: Depth=4
	s_wait_alu 0xfffe
	s_add_co_i32 s23, s23, 1
	s_wait_alu 0xfffe
	s_cmp_lg_u32 s23, 0x2710
	s_cselect_b32 s24, -1, 0
	s_wait_alu 0xfffe
	s_and_b32 vcc_lo, exec_lo, s24
	s_wait_alu 0xfffe
	s_cbranch_vccz .LBB2_975
; %bb.974:                              ;   in Loop: Header=BB2_973 Depth=4
	s_mov_b32 s26, -1
	s_or_b32 s22, s22, exec_lo
	s_and_saveexec_b32 s25, s24
	s_cbranch_execz .LBB2_972
	s_branch .LBB2_976
.LBB2_975:                              ;   in Loop: Header=BB2_973 Depth=4
	s_trap 2
	ds_load_b64 v[8:9], v0
	s_and_not1_b32 s24, s24, exec_lo
	s_mov_b32 s23, 0
	s_wait_loadcnt_dscnt 0x0
	flat_load_b32 v8, v[8:9] scope:SCOPE_SYS
	s_wait_loadcnt_dscnt 0x0
	global_inv scope:SCOPE_SYS
	v_cmp_eq_u32_e32 vcc_lo, 0, v8
	s_and_b32 s25, vcc_lo, exec_lo
	s_wait_alu 0xfffe
	s_or_b32 s24, s24, s25
	s_mov_b32 s26, -1
	s_or_b32 s22, s22, exec_lo
	s_wait_alu 0xfffe
	s_and_saveexec_b32 s25, s24
	s_cbranch_execz .LBB2_972
.LBB2_976:                              ;   in Loop: Header=BB2_973 Depth=4
	s_sleep 1
	s_trap 2
	ds_load_b64 v[8:9], v0
	s_wait_dscnt 0x0
	global_inv scope:SCOPE_SE
	s_wait_alu 0xfffe
	s_and_not1_b32 s22, s22, exec_lo
	v_cmp_ge_u64_e32 vcc_lo, v[8:9], v[12:13]
	s_or_not1_b32 s26, vcc_lo, exec_lo
	s_branch .LBB2_972
.LBB2_977:                              ;   in Loop: Header=BB2_939 Depth=3
	s_or_b32 exec_lo, exec_lo, s20
	s_wait_alu 0xfffe
	s_and_saveexec_b32 s20, s21
	s_wait_alu 0xfffe
	s_xor_b32 s20, exec_lo, s20
	s_cbranch_execz .LBB2_979
; %bb.978:                              ;   in Loop: Header=BB2_939 Depth=3
	ds_store_b32 v0, v84
	s_trap 2
.LBB2_979:                              ;   in Loop: Header=BB2_939 Depth=3
	s_wait_alu 0xfffe
	s_or_b32 exec_lo, exec_lo, s19
	;;#ASMSTART
	s_wakeup
	;;#ASMEND
.LBB2_980:                              ;   in Loop: Header=BB2_939 Depth=3
	s_wait_alu 0xfffe
	s_or_b32 exec_lo, exec_lo, s17
.LBB2_981:                              ;   in Loop: Header=BB2_939 Depth=3
	s_wait_alu 0xfffe
	s_and_not1_saveexec_b32 s16, s16
	s_cbranch_execz .LBB2_983
; %bb.982:                              ;   in Loop: Header=BB2_939 Depth=3
	s_wait_storecnt 0x0
	s_wait_loadcnt_dscnt 0x0
	global_inv scope:SCOPE_DEV
	s_barrier_signal -1
	s_barrier_wait -1
.LBB2_983:                              ;   in Loop: Header=BB2_939 Depth=3
	s_wait_alu 0xfffe
	s_or_b32 exec_lo, exec_lo, s16
.LBB2_984:                              ;   in Loop: Header=BB2_939 Depth=3
	s_wait_alu 0xfffe
	s_or_b32 exec_lo, exec_lo, s13
	v_and_b32_e32 v8, 16, v70
	s_and_saveexec_b32 s13, s7
	s_wait_alu 0xfffe
	s_xor_b32 s16, exec_lo, s13
	s_cbranch_execz .LBB2_988
; %bb.985:                              ;   in Loop: Header=BB2_939 Depth=3
	s_trap 2
	ds_load_b32 v8, v0
	v_cmp_lt_i32_e32 vcc_lo, 0, v50
	s_wait_dscnt 0x0
	v_readfirstlane_b32 s13, v8
	v_and_b32_e32 v8, 16, v70
	s_cmp_eq_u32 s13, 0
	s_delay_alu instid0(VALU_DEP_1)
	v_cmp_ne_u32_e64 s13, 0, v8
	s_cselect_b32 s17, -1, 0
	v_and_b32_e32 v8, 16, v70
	s_wait_alu 0xfffe
	s_and_b32 s17, vcc_lo, s17
	s_wait_alu 0xfffe
	s_and_b32 s17, s13, s17
	s_wait_alu 0xfffe
	s_and_saveexec_b32 s13, s17
	s_cbranch_execz .LBB2_987
; %bb.986:                              ;   in Loop: Header=BB2_939 Depth=3
	v_mov_b32_e32 v8, 1
	global_wb scope:SCOPE_SYS
	s_wait_loadcnt 0x0
	s_wait_storecnt 0x0
	global_inv scope:SCOPE_SYS
.LBB2_987:                              ;   in Loop: Header=BB2_939 Depth=3
	s_wait_alu 0xfffe
	s_or_b32 exec_lo, exec_lo, s13
.LBB2_988:                              ;   in Loop: Header=BB2_939 Depth=3
	s_wait_alu 0xfffe
	s_and_not1_saveexec_b32 s13, s16
	s_cbranch_execz .LBB2_1007
; %bb.989:                              ;   in Loop: Header=BB2_939 Depth=3
	s_and_saveexec_b32 s16, s3
	s_wait_alu 0xfffe
	s_xor_b32 s16, exec_lo, s16
	s_cbranch_execz .LBB2_1004
; %bb.990:                              ;   in Loop: Header=BB2_939 Depth=3
	s_and_saveexec_b32 s17, s6
	s_cbranch_execz .LBB2_1003
; %bb.991:                              ;   in Loop: Header=BB2_939 Depth=3
	s_mov_b32 s20, exec_lo
	s_mov_b32 s19, exec_lo
	s_wait_alu 0xfffe
	v_mbcnt_lo_u32_b32 v9, s20, 0
	;;#ASMSTART
	s_waitcnt lgkmcnt(0) vmcnt(0)
	;;#ASMEND
	s_delay_alu instid0(VALU_DEP_1)
	v_cmpx_eq_u32_e32 0, v9
	s_cbranch_execz .LBB2_993
; %bb.992:                              ;   in Loop: Header=BB2_939 Depth=3
	s_bcnt1_i32_b32 s20, s20
	s_wait_alu 0xfffe
	v_dual_mov_b32 v10, v2 :: v_dual_mov_b32 v9, s20
	s_wait_storecnt 0x0
	s_wait_loadcnt_dscnt 0x0
	ds_add_u64 v0, v[9:10]
	s_trap 2
.LBB2_993:                              ;   in Loop: Header=BB2_939 Depth=3
	s_or_b32 exec_lo, exec_lo, s19
	s_trap 2
	ds_load_b64 v[9:10], v0
	s_wait_dscnt 0x0
	global_inv scope:SCOPE_SE
	v_add_co_u32 v12, vcc_lo, v12, v81
	s_wait_alu 0xfffd
	v_add_co_ci_u32_e64 v13, null, 0, v13, vcc_lo
	s_mov_b32 s19, exec_lo
	v_cmpx_lt_u64_e64 v[9:10], v[12:13]
	s_cbranch_execz .LBB2_1002
; %bb.994:                              ;   in Loop: Header=BB2_939 Depth=3
	s_mov_b32 s20, 0
	s_mov_b32 s23, 0
                                        ; implicit-def: $sgpr21
                                        ; implicit-def: $sgpr22
	s_branch .LBB2_996
.LBB2_995:                              ;   in Loop: Header=BB2_996 Depth=4
	s_wait_alu 0xfffe
	s_or_b32 exec_lo, exec_lo, s25
	s_delay_alu instid0(SALU_CYCLE_1)
	s_and_b32 s24, exec_lo, s26
	s_wait_alu 0xfffe
	s_or_b32 s20, s24, s20
	s_and_not1_b32 s21, s21, exec_lo
	s_and_b32 s24, s22, exec_lo
	s_wait_alu 0xfffe
	s_or_b32 s21, s21, s24
	s_and_not1_b32 exec_lo, exec_lo, s20
	s_cbranch_execz .LBB2_1000
.LBB2_996:                              ;   Parent Loop BB2_47 Depth=1
                                        ;     Parent Loop BB2_753 Depth=2
                                        ;       Parent Loop BB2_939 Depth=3
                                        ; =>      This Inner Loop Header: Depth=4
	s_wait_alu 0xfffe
	s_add_co_i32 s23, s23, 1
	s_wait_alu 0xfffe
	s_cmp_lg_u32 s23, 0x2710
	s_cselect_b32 s24, -1, 0
	s_wait_alu 0xfffe
	s_and_b32 vcc_lo, exec_lo, s24
	s_wait_alu 0xfffe
	s_cbranch_vccz .LBB2_998
; %bb.997:                              ;   in Loop: Header=BB2_996 Depth=4
	s_mov_b32 s26, -1
	s_or_b32 s22, s22, exec_lo
	s_and_saveexec_b32 s25, s24
	s_cbranch_execz .LBB2_995
	s_branch .LBB2_999
.LBB2_998:                              ;   in Loop: Header=BB2_996 Depth=4
	s_trap 2
	ds_load_b64 v[9:10], v0
	s_and_not1_b32 s24, s24, exec_lo
	s_mov_b32 s23, 0
	s_wait_storecnt 0x0
	s_wait_loadcnt_dscnt 0x0
	flat_load_b32 v9, v[9:10] scope:SCOPE_SYS
	s_wait_loadcnt_dscnt 0x0
	global_inv scope:SCOPE_SYS
	v_cmp_eq_u32_e32 vcc_lo, 0, v9
	s_and_b32 s25, vcc_lo, exec_lo
	s_wait_alu 0xfffe
	s_or_b32 s24, s24, s25
	s_mov_b32 s26, -1
	s_or_b32 s22, s22, exec_lo
	s_wait_alu 0xfffe
	s_and_saveexec_b32 s25, s24
	s_cbranch_execz .LBB2_995
.LBB2_999:                              ;   in Loop: Header=BB2_996 Depth=4
	s_sleep 1
	s_trap 2
	ds_load_b64 v[9:10], v0
	s_wait_dscnt 0x0
	global_inv scope:SCOPE_SE
	s_wait_alu 0xfffe
	s_and_not1_b32 s22, s22, exec_lo
	v_cmp_ge_u64_e32 vcc_lo, v[9:10], v[12:13]
	s_or_not1_b32 s26, vcc_lo, exec_lo
	s_branch .LBB2_995
.LBB2_1000:                             ;   in Loop: Header=BB2_939 Depth=3
	s_or_b32 exec_lo, exec_lo, s20
	s_wait_alu 0xfffe
	s_and_saveexec_b32 s20, s21
	s_wait_alu 0xfffe
	s_xor_b32 s20, exec_lo, s20
	s_cbranch_execz .LBB2_1002
; %bb.1001:                             ;   in Loop: Header=BB2_939 Depth=3
	ds_store_b32 v0, v84
	s_trap 2
.LBB2_1002:                             ;   in Loop: Header=BB2_939 Depth=3
	s_wait_alu 0xfffe
	s_or_b32 exec_lo, exec_lo, s19
	;;#ASMSTART
	s_wakeup
	;;#ASMEND
.LBB2_1003:                             ;   in Loop: Header=BB2_939 Depth=3
	s_wait_alu 0xfffe
	s_or_b32 exec_lo, exec_lo, s17
.LBB2_1004:                             ;   in Loop: Header=BB2_939 Depth=3
	s_wait_alu 0xfffe
	s_and_not1_saveexec_b32 s16, s16
	s_cbranch_execz .LBB2_1006
; %bb.1005:                             ;   in Loop: Header=BB2_939 Depth=3
	;;#ASMSTART
	s_waitcnt lgkmcnt(0) vmcnt(0)
	;;#ASMEND
	s_barrier_signal -1
	s_barrier_wait -1
.LBB2_1006:                             ;   in Loop: Header=BB2_939 Depth=3
	s_wait_alu 0xfffe
	s_or_b32 exec_lo, exec_lo, s16
.LBB2_1007:                             ;   in Loop: Header=BB2_939 Depth=3
	s_wait_alu 0xfffe
	s_or_b32 exec_lo, exec_lo, s13
	v_cmp_ne_u32_e32 vcc_lo, 0, v8
	s_xor_b32 s13, s4, -1
	s_wait_alu 0xfffe
	s_and_b32 s16, vcc_lo, s13
	s_wait_alu 0xfffe
	s_and_saveexec_b32 s13, s16
	s_cbranch_execz .LBB2_1009
; %bb.1008:                             ;   in Loop: Header=BB2_939 Depth=3
	global_wb scope:SCOPE_SYS
	s_wait_storecnt 0x0
	s_wait_loadcnt_dscnt 0x0
	flat_store_b32 v[24:25], v84 scope:SCOPE_SYS
.LBB2_1009:                             ;   in Loop: Header=BB2_939 Depth=3
	s_wait_alu 0xfffe
	s_or_b32 exec_lo, exec_lo, s13
	v_and_b32_e32 v8, 48, v70
	s_mov_b32 s13, exec_lo
	s_delay_alu instid0(VALU_DEP_1)
	v_cmpx_ne_u32_e32 0, v8
	s_cbranch_execz .LBB2_938
; %bb.1010:                             ;   in Loop: Header=BB2_939 Depth=3
	v_add_co_u32 v38, vcc_lo, v38, 2
	s_wait_alu 0xfffd
	v_add_co_ci_u32_e64 v39, null, 0, v39, vcc_lo
	global_wb scope:SCOPE_SYS
	s_wait_storecnt 0x0
	s_wait_loadcnt_dscnt 0x0
	flat_store_b64 v[20:21], v[38:39] scope:SCOPE_SYS
	s_branch .LBB2_938
.LBB2_1011:                             ;   in Loop: Header=BB2_753 Depth=2
	s_or_b32 exec_lo, exec_lo, s15
.LBB2_1012:                             ;   in Loop: Header=BB2_753 Depth=2
	s_wait_alu 0xfffe
	s_or_b32 exec_lo, exec_lo, s14
	s_add_co_i32 s13, s18, 1
	s_cmp_eq_u32 s18, s73
	s_cbranch_scc1 .LBB2_1014
; %bb.1013:                             ;   in Loop: Header=BB2_753 Depth=2
	s_wait_alu 0xfffe
	s_mov_b32 s18, s13
	s_branch .LBB2_753
.LBB2_1014:                             ;   in Loop: Header=BB2_47 Depth=1
	v_mul_lo_u32 v3, v37, s75
	v_mul_lo_u32 v10, v36, s78
	v_mad_co_u64_u32 v[8:9], null, v36, s75, 0
	v_mov_b32_e32 v51, 0
	s_delay_alu instid0(VALU_DEP_2) | instskip(NEXT) | instid1(VALU_DEP_3)
	v_add3_u32 v9, v9, v10, v3
	v_sub_co_u32 v10, vcc_lo, v48, v8
	s_wait_alu 0xfffd
	s_delay_alu instid0(VALU_DEP_2) | instskip(NEXT) | instid1(VALU_DEP_1)
	v_sub_co_ci_u32_e64 v11, null, v49, v9, vcc_lo
	v_cmp_lt_i64_e32 vcc_lo, v[36:37], v[10:11]
	s_wait_alu 0xfffd
	v_cndmask_b32_e32 v11, v10, v36, vcc_lo
	s_delay_alu instid0(VALU_DEP_1) | instskip(NEXT) | instid1(VALU_DEP_1)
	v_max_i32_e32 v3, 0, v11
	v_add_nc_u32_e32 v10, 31, v3
	v_cmp_lt_i32_e32 vcc_lo, 0, v11
	s_delay_alu instid0(VALU_DEP_2) | instskip(SKIP_1) | instid1(VALU_DEP_1)
	v_lshrrev_b32_e32 v10, 1, v10
	s_and_b32 s13, s74, vcc_lo
	v_and_b32_e32 v48, 0x3ffffff0, v10
	v_mov_b32_e32 v10, 0
	s_delay_alu instid0(VALU_DEP_2)
	v_max_i32_e32 v50, s62, v48
	s_wait_alu 0xfffe
	s_and_saveexec_b32 s15, s13
	s_cbranch_execz .LBB2_1154
; %bb.1015:                             ;   in Loop: Header=BB2_47 Depth=1
	v_add_co_u32 v52, vcc_lo, v8, v118
	s_wait_alu 0xfffd
	v_add_co_ci_u32_e64 v53, null, v9, v119, vcc_lo
	v_mov_b32_e32 v51, 0
	s_mov_b32 s18, 1
	s_mov_b32 s17, -1
	s_mov_b32 s16, 0
	s_branch .LBB2_1017
.LBB2_1016:                             ;   in Loop: Header=BB2_1017 Depth=2
	s_wait_alu 0xfffe
	s_or_b32 exec_lo, exec_lo, s13
	v_dual_mov_b32 v10, s18 :: v_dual_add_nc_u32 v51, v50, v51
	s_xor_b32 s13, s17, -1
	s_mov_b32 s17, 0
	s_mov_b32 s18, 2
	s_delay_alu instid0(VALU_DEP_1)
	v_cmp_ge_i32_e32 vcc_lo, v51, v3
	s_wait_alu 0xfffe
	s_or_b32 s13, s13, vcc_lo
	s_wait_alu 0xfffe
	s_and_b32 s13, exec_lo, s13
	s_wait_alu 0xfffe
	s_or_b32 s16, s13, s16
	s_wait_alu 0xfffe
	s_and_not1_b32 exec_lo, exec_lo, s16
	s_cbranch_execz .LBB2_1153
.LBB2_1017:                             ;   Parent Loop BB2_47 Depth=1
                                        ; =>  This Loop Header: Depth=2
                                        ;       Child Loop BB2_1025 Depth 3
                                        ;       Child Loop BB2_1049 Depth 3
                                        ;       Child Loop BB2_1068 Depth 3
                                        ;       Child Loop BB2_1094 Depth 3
                                        ;       Child Loop BB2_1099 Depth 3
                                        ;       Child Loop BB2_1107 Depth 3
                                        ;       Child Loop BB2_1112 Depth 3
                                        ;       Child Loop BB2_1121 Depth 3
                                        ;       Child Loop BB2_1140 Depth 3
	s_and_saveexec_b32 s14, s0
	s_cbranch_execz .LBB2_1019
; %bb.1018:                             ;   in Loop: Header=BB2_1017 Depth=2
	s_trap 2
	ds_load_b128 v[8:11], v0
	v_ashrrev_i32_e32 v48, 31, v51
	s_wait_dscnt 0x0
	v_add_co_u32 v49, vcc_lo, v10, v52
	s_wait_alu 0xfffd
	v_add_co_ci_u32_e64 v54, null, v11, v53, vcc_lo
	v_add_co_u32 v8, vcc_lo, v8, v52
	s_wait_alu 0xfffd
	v_add_co_ci_u32_e64 v9, null, v9, v53, vcc_lo
	;; [unrolled: 3-line block ×3, first 2 shown]
	v_cmp_ne_u64_e32 vcc_lo, 0, v[10:11]
	v_add_co_u32 v8, s13, v8, v51
	s_wait_alu 0xf1ff
	v_add_co_ci_u32_e64 v9, null, v9, v48, s13
	s_wait_alu 0xfffd
	v_dual_cndmask_b32 v11, 0, v54 :: v_dual_cndmask_b32 v10, 0, v49
	ds_store_b64 v0, v[8:9]
	ds_store_b64 v0, v[10:11]
.LBB2_1019:                             ;   in Loop: Header=BB2_1017 Depth=2
	s_wait_alu 0xfffe
	s_or_b32 exec_lo, exec_lo, s14
	v_and_b32_e32 v8, 4, v70
	s_mov_b32 s14, exec_lo
	s_delay_alu instid0(VALU_DEP_1)
	v_cmpx_ne_u32_e32 0, v8
	s_cbranch_execz .LBB2_1041
; %bb.1020:                             ;   in Loop: Header=BB2_1017 Depth=2
	v_add_co_u32 v8, vcc_lo, v38, 2
	s_wait_alu 0xfffd
	v_add_co_ci_u32_e64 v9, null, 0, v39, vcc_lo
	s_mov_b32 s19, exec_lo
	v_cmpx_lt_u64_e64 v[26:27], v[8:9]
	s_cbranch_execz .LBB2_1032
; %bb.1021:                             ;   in Loop: Header=BB2_1017 Depth=2
	v_and_b32_e32 v10, 64, v70
	s_mov_b32 s20, 0
	s_mov_b32 s24, 0
                                        ; implicit-def: $sgpr21
                                        ; implicit-def: $sgpr22
                                        ; implicit-def: $sgpr23
	s_delay_alu instid0(VALU_DEP_1)
	v_cmp_eq_u32_e32 vcc_lo, 0, v10
	s_branch .LBB2_1025
.LBB2_1022:                             ;   in Loop: Header=BB2_1025 Depth=3
	v_cmp_ge_u64_e64 s13, v[26:27], v[8:9]
	s_or_b32 s27, s27, exec_lo
	s_or_not1_b32 s26, s13, exec_lo
.LBB2_1023:                             ;   in Loop: Header=BB2_1025 Depth=3
	s_wait_alu 0xfffe
	s_or_b32 exec_lo, exec_lo, s29
	s_delay_alu instid0(SALU_CYCLE_1)
	s_and_not1_b32 s13, s23, exec_lo
	s_and_b32 s23, s27, exec_lo
	s_and_not1_b32 s22, s22, exec_lo
	s_and_b32 s26, s26, exec_lo
	s_wait_alu 0xfffe
	s_or_b32 s23, s13, s23
	s_or_b32 s22, s22, s26
.LBB2_1024:                             ;   in Loop: Header=BB2_1025 Depth=3
	s_wait_alu 0xfffe
	s_or_b32 exec_lo, exec_lo, s25
	s_delay_alu instid0(SALU_CYCLE_1)
	s_and_b32 s13, exec_lo, s22
	s_wait_alu 0xfffe
	s_or_b32 s20, s13, s20
	s_and_not1_b32 s13, s21, exec_lo
	s_and_b32 s21, s23, exec_lo
	s_wait_alu 0xfffe
	s_or_b32 s21, s13, s21
	s_and_not1_b32 exec_lo, exec_lo, s20
	s_cbranch_execz .LBB2_1029
.LBB2_1025:                             ;   Parent Loop BB2_47 Depth=1
                                        ;     Parent Loop BB2_1017 Depth=2
                                        ; =>    This Inner Loop Header: Depth=3
	s_sleep 1
	flat_load_b64 v[26:27], v[20:21] scope:SCOPE_SYS
	s_wait_loadcnt_dscnt 0x0
	global_inv scope:SCOPE_SYS
	s_or_b32 s23, s23, exec_lo
	s_or_b32 s22, s22, exec_lo
                                        ; implicit-def: $vgpr10
	s_and_saveexec_b32 s25, vcc_lo
	s_cbranch_execz .LBB2_1024
; %bb.1026:                             ;   in Loop: Header=BB2_1025 Depth=3
	s_wait_alu 0xfffe
	s_cmp_lt_i32 s24, 0x270f
	s_mov_b32 s26, -1
	s_cselect_b32 s28, -1, 0
	s_cmp_gt_i32 s24, 0x270e
	s_cbranch_scc0 .LBB2_1028
; %bb.1027:                             ;   in Loop: Header=BB2_1025 Depth=3
	s_trap 2
	ds_load_b64 v[10:11], v0
	s_wait_alu 0xfffe
	s_and_not1_b32 s24, s28, exec_lo
	s_mov_b32 s27, 0
	s_wait_storecnt 0x0
	s_wait_loadcnt_dscnt 0x0
	flat_load_b32 v10, v[10:11] scope:SCOPE_SYS
	s_wait_loadcnt_dscnt 0x0
	global_inv scope:SCOPE_SYS
	v_cmp_eq_u32_e64 s13, 0, v10
	s_and_b32 s13, s13, exec_lo
	s_wait_alu 0xfffe
	s_or_b32 s28, s24, s13
	s_mov_b32 s24, 0
	s_wait_alu 0xfffe
	s_and_saveexec_b32 s29, s28
	s_cbranch_execz .LBB2_1023
	s_branch .LBB2_1022
.LBB2_1028:                             ;   in Loop: Header=BB2_1025 Depth=3
	s_add_co_i32 s24, s24, 1
	s_mov_b32 s27, -1
                                        ; implicit-def: $vgpr10
	s_wait_alu 0xfffe
	s_and_saveexec_b32 s29, s28
	s_cbranch_execz .LBB2_1023
	s_branch .LBB2_1022
.LBB2_1029:                             ;   in Loop: Header=BB2_1017 Depth=2
	s_or_b32 exec_lo, exec_lo, s20
	s_wait_alu 0xfffe
	s_xor_b32 s13, s21, -1
	s_wait_alu 0xfffe
	s_and_saveexec_b32 s20, s13
	s_wait_alu 0xfffe
	s_xor_b32 s13, exec_lo, s20
	s_cbranch_execz .LBB2_1031
; %bb.1030:                             ;   in Loop: Header=BB2_1017 Depth=2
	v_or_b32_e32 v70, 64, v70
	s_wait_loadcnt 0x0
	s_wait_storecnt 0x0
	ds_store_b32 v0, v10
	s_trap 2
.LBB2_1031:                             ;   in Loop: Header=BB2_1017 Depth=2
	s_wait_alu 0xfffe
	s_or_b32 exec_lo, exec_lo, s13
.LBB2_1032:                             ;   in Loop: Header=BB2_1017 Depth=2
	s_wait_alu 0xfffe
	s_or_b32 exec_lo, exec_lo, s19
	v_and_b32_e32 v10, 0x100, v70
	v_and_b32_e32 v48, 7, v38
	s_mov_b32 s13, -1
	;;#ASMSTART
	s_wakeup
	;;#ASMEND
	s_delay_alu instid0(VALU_DEP_2)
	v_cmp_ne_u32_e32 vcc_lo, 0, v10
                                        ; implicit-def: $vgpr10_vgpr11
	s_and_saveexec_b32 s19, vcc_lo
	s_cbranch_execz .LBB2_1036
; %bb.1033:                             ;   in Loop: Header=BB2_1017 Depth=2
	v_mad_co_u64_u32 v[38:39], null, v48, 24, v[6:7]
	flat_load_b32 v10, v[38:39]
	s_wait_loadcnt_dscnt 0x0
	v_cmp_eq_u32_e64 s13, 1, v10
	v_cmp_ne_u32_e32 vcc_lo, 1, v10
                                        ; implicit-def: $vgpr10_vgpr11
	s_wait_alu 0xfffe
	s_and_saveexec_b32 s20, s13
	s_cbranch_execz .LBB2_1035
; %bb.1034:                             ;   in Loop: Header=BB2_1017 Depth=2
	flat_load_b32 v10, v[38:39] offset:4 scope:SCOPE_SYS
	s_wait_loadcnt_dscnt 0x0
	v_ashrrev_i32_e32 v11, 31, v10
.LBB2_1035:                             ;   in Loop: Header=BB2_1017 Depth=2
	s_wait_alu 0xfffe
	s_or_b32 exec_lo, exec_lo, s20
	s_delay_alu instid0(SALU_CYCLE_1)
	s_or_not1_b32 s13, vcc_lo, exec_lo
.LBB2_1036:                             ;   in Loop: Header=BB2_1017 Depth=2
	s_wait_alu 0xfffe
	s_or_b32 exec_lo, exec_lo, s19
	s_and_saveexec_b32 s19, s13
; %bb.1037:                             ;   in Loop: Header=BB2_1017 Depth=2
	v_mad_co_i64_i32 v[10:11], null, v48, v71, 0
; %bb.1038:                             ;   in Loop: Header=BB2_1017 Depth=2
	s_wait_alu 0xfffe
	s_or_b32 exec_lo, exec_lo, s19
	s_delay_alu instid0(VALU_DEP_1) | instskip(SKIP_2) | instid1(VALU_DEP_3)
	v_add_co_u32 v10, vcc_lo, v22, v10
	v_and_b32_e32 v38, 0x2000, v70
	s_wait_alu 0xfffd
	v_add_co_ci_u32_e64 v11, null, v23, v11, vcc_lo
	s_mov_b32 s13, exec_lo
	ds_store_b64 v0, v[10:11] offset:720
	v_cmpx_ne_u32_e32 0, v38
	s_cbranch_execz .LBB2_1040
; %bb.1039:                             ;   in Loop: Header=BB2_1017 Depth=2
	ds_load_b64 v[10:11], v0 offset:872
	s_wait_dscnt 0x0
	v_add_co_u32 v10, vcc_lo, v10, 1
	s_wait_alu 0xfffd
	v_add_co_ci_u32_e64 v11, null, 0, v11, vcc_lo
	ds_store_b64 v0, v[10:11] offset:872
.LBB2_1040:                             ;   in Loop: Header=BB2_1017 Depth=2
	s_wait_alu 0xfffe
	s_or_b32 exec_lo, exec_lo, s13
	v_dual_mov_b32 v39, v9 :: v_dual_mov_b32 v38, v8
.LBB2_1041:                             ;   in Loop: Header=BB2_1017 Depth=2
	s_wait_alu 0xfffe
	s_or_b32 exec_lo, exec_lo, s14
	s_and_saveexec_b32 s13, s2
	s_cbranch_execz .LBB2_1060
; %bb.1042:                             ;   in Loop: Header=BB2_1017 Depth=2
	s_and_saveexec_b32 s14, s3
	s_wait_alu 0xfffe
	s_xor_b32 s14, exec_lo, s14
	s_cbranch_execz .LBB2_1057
; %bb.1043:                             ;   in Loop: Header=BB2_1017 Depth=2
	s_and_saveexec_b32 s19, s6
	s_cbranch_execz .LBB2_1056
; %bb.1044:                             ;   in Loop: Header=BB2_1017 Depth=2
	s_mov_b32 s21, exec_lo
	s_mov_b32 s20, exec_lo
	s_wait_alu 0xfffe
	v_mbcnt_lo_u32_b32 v8, s21, 0
	s_wait_storecnt 0x0
	s_wait_loadcnt_dscnt 0x0
	global_inv scope:SCOPE_DEV
	v_cmpx_eq_u32_e32 0, v8
	s_cbranch_execz .LBB2_1046
; %bb.1045:                             ;   in Loop: Header=BB2_1017 Depth=2
	s_bcnt1_i32_b32 s21, s21
	s_wait_alu 0xfffe
	v_dual_mov_b32 v9, v2 :: v_dual_mov_b32 v8, s21
	s_wait_loadcnt 0x0
	ds_add_u64 v0, v[8:9]
	s_trap 2
.LBB2_1046:                             ;   in Loop: Header=BB2_1017 Depth=2
	s_or_b32 exec_lo, exec_lo, s20
	s_trap 2
	ds_load_b64 v[8:9], v0
	s_wait_dscnt 0x0
	global_inv scope:SCOPE_SE
	v_add_co_u32 v12, vcc_lo, v12, v81
	s_wait_alu 0xfffd
	v_add_co_ci_u32_e64 v13, null, 0, v13, vcc_lo
	s_mov_b32 s20, exec_lo
	v_cmpx_lt_u64_e64 v[8:9], v[12:13]
	s_cbranch_execz .LBB2_1055
; %bb.1047:                             ;   in Loop: Header=BB2_1017 Depth=2
	s_mov_b32 s21, 0
	s_mov_b32 s24, 0
                                        ; implicit-def: $sgpr22
                                        ; implicit-def: $sgpr23
	s_branch .LBB2_1049
.LBB2_1048:                             ;   in Loop: Header=BB2_1049 Depth=3
	s_wait_alu 0xfffe
	s_or_b32 exec_lo, exec_lo, s26
	s_delay_alu instid0(SALU_CYCLE_1)
	s_and_b32 s25, exec_lo, s27
	s_wait_alu 0xfffe
	s_or_b32 s21, s25, s21
	s_and_not1_b32 s22, s22, exec_lo
	s_and_b32 s25, s23, exec_lo
	s_wait_alu 0xfffe
	s_or_b32 s22, s22, s25
	s_and_not1_b32 exec_lo, exec_lo, s21
	s_cbranch_execz .LBB2_1053
.LBB2_1049:                             ;   Parent Loop BB2_47 Depth=1
                                        ;     Parent Loop BB2_1017 Depth=2
                                        ; =>    This Inner Loop Header: Depth=3
	s_wait_alu 0xfffe
	s_add_co_i32 s24, s24, 1
	s_wait_alu 0xfffe
	s_cmp_lg_u32 s24, 0x2710
	s_cselect_b32 s25, -1, 0
	s_wait_alu 0xfffe
	s_and_b32 vcc_lo, exec_lo, s25
	s_wait_alu 0xfffe
	s_cbranch_vccz .LBB2_1051
; %bb.1050:                             ;   in Loop: Header=BB2_1049 Depth=3
	s_mov_b32 s27, -1
	s_or_b32 s23, s23, exec_lo
	s_and_saveexec_b32 s26, s25
	s_cbranch_execz .LBB2_1048
	s_branch .LBB2_1052
.LBB2_1051:                             ;   in Loop: Header=BB2_1049 Depth=3
	s_trap 2
	ds_load_b64 v[8:9], v0
	s_and_not1_b32 s25, s25, exec_lo
	s_mov_b32 s24, 0
	s_wait_loadcnt_dscnt 0x0
	flat_load_b32 v8, v[8:9] scope:SCOPE_SYS
	s_wait_loadcnt_dscnt 0x0
	global_inv scope:SCOPE_SYS
	v_cmp_eq_u32_e32 vcc_lo, 0, v8
	s_and_b32 s26, vcc_lo, exec_lo
	s_wait_alu 0xfffe
	s_or_b32 s25, s25, s26
	s_mov_b32 s27, -1
	s_or_b32 s23, s23, exec_lo
	s_wait_alu 0xfffe
	s_and_saveexec_b32 s26, s25
	s_cbranch_execz .LBB2_1048
.LBB2_1052:                             ;   in Loop: Header=BB2_1049 Depth=3
	s_sleep 1
	s_trap 2
	ds_load_b64 v[8:9], v0
	s_wait_dscnt 0x0
	global_inv scope:SCOPE_SE
	s_wait_alu 0xfffe
	s_and_not1_b32 s23, s23, exec_lo
	v_cmp_ge_u64_e32 vcc_lo, v[8:9], v[12:13]
	s_or_not1_b32 s27, vcc_lo, exec_lo
	s_branch .LBB2_1048
.LBB2_1053:                             ;   in Loop: Header=BB2_1017 Depth=2
	s_or_b32 exec_lo, exec_lo, s21
	s_wait_alu 0xfffe
	s_and_saveexec_b32 s21, s22
	s_wait_alu 0xfffe
	s_xor_b32 s21, exec_lo, s21
	s_cbranch_execz .LBB2_1055
; %bb.1054:                             ;   in Loop: Header=BB2_1017 Depth=2
	ds_store_b32 v0, v84
	s_trap 2
.LBB2_1055:                             ;   in Loop: Header=BB2_1017 Depth=2
	s_wait_alu 0xfffe
	s_or_b32 exec_lo, exec_lo, s20
	;;#ASMSTART
	s_wakeup
	;;#ASMEND
.LBB2_1056:                             ;   in Loop: Header=BB2_1017 Depth=2
	s_wait_alu 0xfffe
	s_or_b32 exec_lo, exec_lo, s19
.LBB2_1057:                             ;   in Loop: Header=BB2_1017 Depth=2
	s_wait_alu 0xfffe
	s_and_not1_saveexec_b32 s14, s14
	s_cbranch_execz .LBB2_1059
; %bb.1058:                             ;   in Loop: Header=BB2_1017 Depth=2
	s_wait_storecnt 0x0
	s_wait_loadcnt_dscnt 0x0
	global_inv scope:SCOPE_DEV
	s_barrier_signal -1
	s_barrier_wait -1
.LBB2_1059:                             ;   in Loop: Header=BB2_1017 Depth=2
	s_wait_alu 0xfffe
	s_or_b32 exec_lo, exec_lo, s14
.LBB2_1060:                             ;   in Loop: Header=BB2_1017 Depth=2
	s_wait_alu 0xfffe
	s_or_b32 exec_lo, exec_lo, s13
	s_trap 2
	ds_load_b32 v48, v0
	v_and_b32_e32 v8, 0x4000, v70
	s_xor_b32 s13, s1, -1
	s_delay_alu instid0(VALU_DEP_1)
	v_cmp_ne_u32_e32 vcc_lo, 0, v8
	s_wait_alu 0xfffe
	s_and_b32 s14, s13, vcc_lo
	s_wait_alu 0xfffe
	s_and_saveexec_b32 s13, s14
	s_cbranch_execz .LBB2_1079
; %bb.1061:                             ;   in Loop: Header=BB2_1017 Depth=2
	s_and_saveexec_b32 s14, s3
	s_wait_alu 0xfffe
	s_xor_b32 s14, exec_lo, s14
	s_cbranch_execz .LBB2_1076
; %bb.1062:                             ;   in Loop: Header=BB2_1017 Depth=2
	s_and_saveexec_b32 s19, s6
	s_cbranch_execz .LBB2_1075
; %bb.1063:                             ;   in Loop: Header=BB2_1017 Depth=2
	s_mov_b32 s21, exec_lo
	s_mov_b32 s20, exec_lo
	s_wait_alu 0xfffe
	v_mbcnt_lo_u32_b32 v8, s21, 0
	s_wait_storecnt 0x0
	s_wait_loadcnt_dscnt 0x0
	global_inv scope:SCOPE_DEV
	v_cmpx_eq_u32_e32 0, v8
	s_cbranch_execz .LBB2_1065
; %bb.1064:                             ;   in Loop: Header=BB2_1017 Depth=2
	s_bcnt1_i32_b32 s21, s21
	s_wait_alu 0xfffe
	v_dual_mov_b32 v9, v2 :: v_dual_mov_b32 v8, s21
	s_wait_loadcnt 0x0
	ds_add_u64 v0, v[8:9]
	s_trap 2
.LBB2_1065:                             ;   in Loop: Header=BB2_1017 Depth=2
	s_or_b32 exec_lo, exec_lo, s20
	s_trap 2
	ds_load_b64 v[8:9], v0
	s_wait_dscnt 0x0
	global_inv scope:SCOPE_SE
	v_add_co_u32 v12, vcc_lo, v12, v81
	s_wait_alu 0xfffd
	v_add_co_ci_u32_e64 v13, null, 0, v13, vcc_lo
	s_mov_b32 s20, exec_lo
	v_cmpx_lt_u64_e64 v[8:9], v[12:13]
	s_cbranch_execz .LBB2_1074
; %bb.1066:                             ;   in Loop: Header=BB2_1017 Depth=2
	s_mov_b32 s21, 0
	s_mov_b32 s24, 0
                                        ; implicit-def: $sgpr22
                                        ; implicit-def: $sgpr23
	s_branch .LBB2_1068
.LBB2_1067:                             ;   in Loop: Header=BB2_1068 Depth=3
	s_wait_alu 0xfffe
	s_or_b32 exec_lo, exec_lo, s26
	s_delay_alu instid0(SALU_CYCLE_1)
	s_and_b32 s25, exec_lo, s27
	s_wait_alu 0xfffe
	s_or_b32 s21, s25, s21
	s_and_not1_b32 s22, s22, exec_lo
	s_and_b32 s25, s23, exec_lo
	s_wait_alu 0xfffe
	s_or_b32 s22, s22, s25
	s_and_not1_b32 exec_lo, exec_lo, s21
	s_cbranch_execz .LBB2_1072
.LBB2_1068:                             ;   Parent Loop BB2_47 Depth=1
                                        ;     Parent Loop BB2_1017 Depth=2
                                        ; =>    This Inner Loop Header: Depth=3
	s_wait_alu 0xfffe
	s_add_co_i32 s24, s24, 1
	s_wait_alu 0xfffe
	s_cmp_lg_u32 s24, 0x2710
	s_cselect_b32 s25, -1, 0
	s_wait_alu 0xfffe
	s_and_b32 vcc_lo, exec_lo, s25
	s_wait_alu 0xfffe
	s_cbranch_vccz .LBB2_1070
; %bb.1069:                             ;   in Loop: Header=BB2_1068 Depth=3
	s_mov_b32 s27, -1
	s_or_b32 s23, s23, exec_lo
	s_and_saveexec_b32 s26, s25
	s_cbranch_execz .LBB2_1067
	s_branch .LBB2_1071
.LBB2_1070:                             ;   in Loop: Header=BB2_1068 Depth=3
	s_trap 2
	ds_load_b64 v[8:9], v0
	s_and_not1_b32 s25, s25, exec_lo
	s_mov_b32 s24, 0
	s_wait_loadcnt_dscnt 0x0
	flat_load_b32 v8, v[8:9] scope:SCOPE_SYS
	s_wait_loadcnt_dscnt 0x0
	global_inv scope:SCOPE_SYS
	v_cmp_eq_u32_e32 vcc_lo, 0, v8
	s_and_b32 s26, vcc_lo, exec_lo
	s_wait_alu 0xfffe
	s_or_b32 s25, s25, s26
	s_mov_b32 s27, -1
	s_or_b32 s23, s23, exec_lo
	s_wait_alu 0xfffe
	s_and_saveexec_b32 s26, s25
	s_cbranch_execz .LBB2_1067
.LBB2_1071:                             ;   in Loop: Header=BB2_1068 Depth=3
	s_sleep 1
	s_trap 2
	ds_load_b64 v[8:9], v0
	s_wait_dscnt 0x0
	global_inv scope:SCOPE_SE
	s_wait_alu 0xfffe
	s_and_not1_b32 s23, s23, exec_lo
	v_cmp_ge_u64_e32 vcc_lo, v[8:9], v[12:13]
	s_or_not1_b32 s27, vcc_lo, exec_lo
	s_branch .LBB2_1067
.LBB2_1072:                             ;   in Loop: Header=BB2_1017 Depth=2
	s_or_b32 exec_lo, exec_lo, s21
	s_wait_alu 0xfffe
	s_and_saveexec_b32 s21, s22
	s_wait_alu 0xfffe
	s_xor_b32 s21, exec_lo, s21
	s_cbranch_execz .LBB2_1074
; %bb.1073:                             ;   in Loop: Header=BB2_1017 Depth=2
	ds_store_b32 v0, v84
	s_trap 2
.LBB2_1074:                             ;   in Loop: Header=BB2_1017 Depth=2
	s_wait_alu 0xfffe
	s_or_b32 exec_lo, exec_lo, s20
	;;#ASMSTART
	s_wakeup
	;;#ASMEND
.LBB2_1075:                             ;   in Loop: Header=BB2_1017 Depth=2
	s_wait_alu 0xfffe
	s_or_b32 exec_lo, exec_lo, s19
.LBB2_1076:                             ;   in Loop: Header=BB2_1017 Depth=2
	s_wait_alu 0xfffe
	s_and_not1_saveexec_b32 s14, s14
	s_cbranch_execz .LBB2_1078
; %bb.1077:                             ;   in Loop: Header=BB2_1017 Depth=2
	s_wait_storecnt 0x0
	s_wait_loadcnt_dscnt 0x0
	global_inv scope:SCOPE_DEV
	s_barrier_signal -1
	s_barrier_wait -1
.LBB2_1078:                             ;   in Loop: Header=BB2_1017 Depth=2
	s_wait_alu 0xfffe
	s_or_b32 exec_lo, exec_lo, s14
.LBB2_1079:                             ;   in Loop: Header=BB2_1017 Depth=2
	s_wait_alu 0xfffe
	s_or_b32 exec_lo, exec_lo, s13
	s_trap 2
	ds_load_b64 v[8:9], v0
	v_sub_nc_u32_e32 v10, v3, v51
	s_delay_alu instid0(VALU_DEP_1)
	v_min_i32_e32 v50, v50, v10
	s_wait_dscnt 0x0
	v_cmp_eq_u64_e32 vcc_lo, 0, v[8:9]
	s_cbranch_vccnz .LBB2_1087
; %bb.1080:                             ;   in Loop: Header=BB2_1017 Depth=2
	s_trap 2
	ds_load_b64 v[10:11], v0
	s_wait_dscnt 0x0
	v_cmp_eq_u64_e32 vcc_lo, 0, v[10:11]
	s_cbranch_vccnz .LBB2_1087
; %bb.1081:                             ;   in Loop: Header=BB2_1017 Depth=2
	s_mov_b32 s13, -1
	s_and_saveexec_b32 s14, s11
	s_cbranch_execz .LBB2_1083
; %bb.1082:                             ;   in Loop: Header=BB2_1017 Depth=2
	ds_load_b32 v49, v0 offset:720
	s_wait_dscnt 0x0
	v_and_b32_e32 v49, 15, v49
	s_delay_alu instid0(VALU_DEP_1)
	v_cmp_eq_u32_e32 vcc_lo, 0, v49
	s_or_not1_b32 s13, vcc_lo, exec_lo
.LBB2_1083:                             ;   in Loop: Header=BB2_1017 Depth=2
	s_wait_alu 0xfffe
	s_or_b32 exec_lo, exec_lo, s14
	s_and_saveexec_b32 s14, s10
	s_cbranch_execz .LBB2_1085
; %bb.1084:                             ;   in Loop: Header=BB2_1017 Depth=2
	ds_load_b32 v49, v0 offset:784
	s_wait_dscnt 0x0
	v_and_b32_e32 v49, 15, v49
	s_delay_alu instid0(VALU_DEP_1)
	v_cmp_eq_u32_e32 vcc_lo, 0, v49
	s_and_b32 s19, s13, vcc_lo
	s_and_not1_b32 s13, s13, exec_lo
	s_wait_alu 0xfffe
	s_and_b32 s19, s19, exec_lo
	s_wait_alu 0xfffe
	s_or_b32 s13, s13, s19
.LBB2_1085:                             ;   in Loop: Header=BB2_1017 Depth=2
	s_wait_alu 0xfffe
	s_or_b32 exec_lo, exec_lo, s14
	v_cmp_eq_u32_e32 vcc_lo, 0, v48
	s_xor_b32 s13, s13, -1
	v_mov_b32_e32 v69, v102
	s_wait_alu 0xfffe
	v_cndmask_b32_e64 v49, 0, 1, s13
	s_mov_b32 s13, -1
	s_wait_alu 0xfffd
	v_dual_cndmask_b32 v54, 0, v50 :: v_dual_mov_b32 v55, v0
	v_mov_b32_e32 v48, 0
	v_cmp_ne_u32_e32 vcc_lo, 0, v49
	s_delay_alu instid0(VALU_DEP_3)
	v_mov_b32_e32 v49, v54
	s_cbranch_vccz .LBB2_1092
; %bb.1086:                             ;   in Loop: Header=BB2_1017 Depth=2
	s_wait_alu 0xfffe
	s_and_saveexec_b32 s14, s13
	s_cbranch_execnz .LBB2_1105
	s_branch .LBB2_1113
.LBB2_1087:                             ;   in Loop: Header=BB2_1017 Depth=2
	s_mov_b32 s13, 0
	s_and_saveexec_b32 s14, s2
	s_cbranch_execnz .LBB2_1114
.LBB2_1088:                             ;   in Loop: Header=BB2_1017 Depth=2
	s_wait_alu 0xfffe
	s_or_b32 exec_lo, exec_lo, s14
	s_and_saveexec_b32 s14, s7
	s_wait_alu 0xfffe
	s_xor_b32 s14, exec_lo, s14
	s_cbranch_execz .LBB2_1132
.LBB2_1089:                             ;   in Loop: Header=BB2_1017 Depth=2
	v_and_b32_e32 v8, 16, v70
	s_delay_alu instid0(VALU_DEP_1)
	v_cmp_ne_u32_e32 vcc_lo, 0, v8
	s_and_b32 s19, vcc_lo, s13
	s_wait_alu 0xfffe
	s_and_saveexec_b32 s13, s19
	s_cbranch_execz .LBB2_1091
; %bb.1090:                             ;   in Loop: Header=BB2_1017 Depth=2
	global_wb scope:SCOPE_SYS
	s_wait_storecnt 0x0
	s_wait_loadcnt_dscnt 0x0
	global_inv scope:SCOPE_SYS
.LBB2_1091:                             ;   in Loop: Header=BB2_1017 Depth=2
	s_wait_alu 0xfffe
	s_or_b32 exec_lo, exec_lo, s13
	s_and_not1_saveexec_b32 s13, s14
	s_cbranch_execz .LBB2_1151
	s_branch .LBB2_1133
.LBB2_1092:                             ;   in Loop: Header=BB2_1017 Depth=2
	v_ashrrev_i32_e32 v48, 31, v54
	s_mov_b32 s14, exec_lo
	s_delay_alu instid0(VALU_DEP_1) | instskip(NEXT) | instid1(VALU_DEP_1)
	v_lshrrev_b32_e32 v48, 22, v48
	v_add_nc_u32_e32 v48, v54, v48
	s_delay_alu instid0(VALU_DEP_1) | instskip(NEXT) | instid1(VALU_DEP_1)
	v_ashrrev_i32_e32 v55, 10, v48
	v_sub_nc_u32_e32 v65, v55, v102
	s_delay_alu instid0(VALU_DEP_1)
	v_cmpx_lt_i32_e32 0, v65
	s_cbranch_execz .LBB2_1096
; %bb.1093:                             ;   in Loop: Header=BB2_1017 Depth=2
	v_dual_mov_b32 v49, v35 :: v_dual_mov_b32 v48, v34
	s_mov_b32 s19, 0
.LBB2_1094:                             ;   Parent Loop BB2_47 Depth=1
                                        ;     Parent Loop BB2_1017 Depth=2
                                        ; =>    This Inner Loop Header: Depth=3
	s_delay_alu instid0(VALU_DEP_1) | instskip(SKIP_1) | instid1(VALU_DEP_2)
	v_add_co_u32 v118, vcc_lo, v8, v48
	s_wait_alu 0xfffd
	v_add_co_ci_u32_e64 v119, null, v9, v49, vcc_lo
	v_sub_nc_u32_e32 v65, v65, v81
	s_clause 0x1
	global_load_b128 v[66:69], v[118:119], off th:TH_LOAD_NT
	global_load_b128 v[128:131], v[118:119], off offset:512 th:TH_LOAD_NT
	v_add_co_u32 v118, vcc_lo, v10, v48
	s_wait_alu 0xfffd
	v_add_co_ci_u32_e64 v119, null, v11, v49, vcc_lo
	v_cmp_gt_i32_e32 vcc_lo, 1, v65
	v_add_co_u32 v48, s13, v48, v87
	s_wait_alu 0xf1fe
	v_add_co_ci_u32_e64 v49, null, 0, v49, s13
	s_or_b32 s19, vcc_lo, s19
	s_wait_loadcnt 0x1
	global_store_b128 v[118:119], v[66:69], off th:TH_STORE_NT
	s_wait_loadcnt 0x0
	global_store_b128 v[118:119], v[128:131], off offset:512 th:TH_STORE_NT
	s_wait_alu 0xfffe
	s_and_not1_b32 exec_lo, exec_lo, s19
	s_cbranch_execnz .LBB2_1094
; %bb.1095:                             ;   in Loop: Header=BB2_1017 Depth=2
	s_or_b32 exec_lo, exec_lo, s19
.LBB2_1096:                             ;   in Loop: Header=BB2_1017 Depth=2
	s_wait_alu 0xfffe
	s_or_b32 exec_lo, exec_lo, s14
	v_lshlrev_b32_e32 v64, 10, v55
	v_mov_b32_e32 v48, 0
	s_mov_b32 s13, 0
	s_mov_b32 s19, exec_lo
                                        ; implicit-def: $vgpr49
                                        ; implicit-def: $vgpr55
                                        ; implicit-def: $vgpr69
	s_delay_alu instid0(VALU_DEP_2)
	v_cmpx_ne_u32_e64 v54, v64
	s_cbranch_execz .LBB2_1104
; %bb.1097:                             ;   in Loop: Header=BB2_1017 Depth=2
	v_lshlrev_b32_e32 v48, 5, v65
	v_sub_nc_u32_e32 v55, v54, v64
	s_mov_b32 s20, exec_lo
	s_delay_alu instid0(VALU_DEP_2) | instskip(NEXT) | instid1(VALU_DEP_2)
	v_sub_nc_u32_e32 v48, v114, v48
	v_ashrrev_i32_e32 v65, 31, v55
	s_delay_alu instid0(VALU_DEP_2) | instskip(NEXT) | instid1(VALU_DEP_2)
	v_ashrrev_i32_e32 v49, 31, v48
	v_lshrrev_b32_e32 v65, 23, v65
	s_delay_alu instid0(VALU_DEP_2) | instskip(NEXT) | instid1(VALU_DEP_2)
	v_lshrrev_b32_e32 v49, 27, v49
	v_add_nc_u32_e32 v68, v55, v65
	s_delay_alu instid0(VALU_DEP_2) | instskip(NEXT) | instid1(VALU_DEP_2)
	v_add_nc_u32_e32 v49, v48, v49
	v_and_b32_e32 v65, 0xfffffe00, v68
	v_ashrrev_i32_e32 v68, 9, v68
	s_delay_alu instid0(VALU_DEP_3) | instskip(NEXT) | instid1(VALU_DEP_3)
	v_and_b32_e32 v66, 0xffffffe0, v49
	v_sub_nc_u32_e32 v67, v55, v65
	v_ashrrev_i32_e32 v69, 5, v49
	s_delay_alu instid0(VALU_DEP_3) | instskip(NEXT) | instid1(VALU_DEP_3)
	v_sub_nc_u32_e32 v66, v48, v66
	v_cmp_lt_i32_e32 vcc_lo, 15, v67
	s_delay_alu instid0(VALU_DEP_2) | instskip(SKIP_2) | instid1(VALU_DEP_2)
	v_lshlrev_b32_e32 v48, 4, v66
	s_wait_alu 0xfffd
	v_add_co_ci_u32_e64 v68, null, 0, v68, vcc_lo
	v_lshl_add_u32 v49, v69, 9, v48
	s_delay_alu instid0(VALU_DEP_2) | instskip(NEXT) | instid1(VALU_DEP_2)
	v_sub_nc_u32_e32 v68, v68, v69
	v_sub_nc_u32_e32 v48, v55, v49
	s_delay_alu instid0(VALU_DEP_1)
	v_cmpx_lt_i32_e32 15, v48
	s_cbranch_execz .LBB2_1101
; %bb.1098:                             ;   in Loop: Header=BB2_1017 Depth=2
	v_add_nc_u32_e32 v49, v49, v64
	s_mov_b32 s21, 0
	s_delay_alu instid0(VALU_DEP_1)
	v_ashrrev_i32_e32 v55, 31, v49
.LBB2_1099:                             ;   Parent Loop BB2_47 Depth=1
                                        ;     Parent Loop BB2_1017 Depth=2
                                        ; =>    This Inner Loop Header: Depth=3
	v_add_co_u32 v118, s13, v8, v49
	s_wait_alu 0xf1fe
	s_delay_alu instid0(VALU_DEP_2)
	v_add_co_ci_u32_e64 v119, null, v9, v55, s13
	v_sub_nc_u32_e32 v48, v48, v96
	v_sub_nc_u32_e32 v68, v68, v81
	global_load_b128 v[128:131], v[118:119], off th:TH_LOAD_NT
	v_add_co_u32 v118, s13, v10, v49
	s_wait_alu 0xf1ff
	v_add_co_ci_u32_e64 v119, null, v11, v55, s13
	v_cmp_gt_i32_e64 s13, 16, v48
	v_add_co_u32 v49, s14, v49, v96
	s_wait_alu 0xf1ff
	v_add_co_ci_u32_e64 v55, null, 0, v55, s14
	s_or_b32 s21, s13, s21
	s_wait_loadcnt 0x0
	global_store_b128 v[118:119], v[128:131], off th:TH_STORE_NT
	s_wait_alu 0xfffe
	s_and_not1_b32 exec_lo, exec_lo, s21
	s_cbranch_execnz .LBB2_1099
; %bb.1100:                             ;   in Loop: Header=BB2_1017 Depth=2
	s_or_b32 exec_lo, exec_lo, s21
.LBB2_1101:                             ;   in Loop: Header=BB2_1017 Depth=2
	s_wait_alu 0xfffe
	s_or_b32 exec_lo, exec_lo, s20
	v_and_b32_e32 v118, 15, v54
	s_mov_b32 s14, 0
	s_mov_b32 s20, exec_lo
                                        ; implicit-def: $vgpr55
                                        ; implicit-def: $vgpr69
	s_delay_alu instid0(VALU_DEP_1) | instskip(NEXT) | instid1(VALU_DEP_1)
	v_dual_mov_b32 v48, 0 :: v_dual_cndmask_b32 v49, v67, v118
	v_cmpx_ne_u32_e32 0, v49
	s_cbranch_execz .LBB2_1103
; %bb.1102:                             ;   in Loop: Header=BB2_1017 Depth=2
	v_cmp_lt_i32_e64 s13, 0, v68
	s_mov_b32 s14, exec_lo
	s_wait_alu 0xf1ff
	v_cndmask_b32_e64 v48, 0, v81, s13
	s_delay_alu instid0(VALU_DEP_1) | instskip(NEXT) | instid1(VALU_DEP_1)
	v_sub_nc_u32_e32 v48, v48, v68
	v_lshl_add_u32 v55, v48, 5, v66
	v_sub_nc_u32_e32 v66, v67, v118
	s_delay_alu instid0(VALU_DEP_2) | instskip(NEXT) | instid1(VALU_DEP_1)
	v_ashrrev_i32_e32 v48, 31, v55
	v_lshrrev_b32_e32 v48, 27, v48
	s_delay_alu instid0(VALU_DEP_1) | instskip(NEXT) | instid1(VALU_DEP_1)
	v_dual_cndmask_b32 v66, 0, v66 :: v_dual_add_nc_u32 v67, v55, v48
	v_add3_u32 v48, v65, v64, v66
	s_delay_alu instid0(VALU_DEP_2)
	v_ashrrev_i32_e32 v69, 5, v67
.LBB2_1103:                             ;   in Loop: Header=BB2_1017 Depth=2
	s_wait_alu 0xfffe
	s_or_b32 exec_lo, exec_lo, s20
	s_delay_alu instid0(SALU_CYCLE_1)
	s_and_b32 s13, s14, exec_lo
.LBB2_1104:                             ;   in Loop: Header=BB2_1017 Depth=2
	s_wait_alu 0xfffe
	s_or_b32 exec_lo, exec_lo, s19
	s_and_saveexec_b32 s14, s13
	s_cbranch_execz .LBB2_1113
.LBB2_1105:                             ;   in Loop: Header=BB2_1017 Depth=2
	v_ashrrev_i32_e32 v64, 31, v49
	v_ashrrev_i32_e32 v65, 31, v55
	s_mov_b32 s13, exec_lo
	s_delay_alu instid0(VALU_DEP_2) | instskip(NEXT) | instid1(VALU_DEP_2)
	v_lshrrev_b32_e32 v64, 24, v64
	v_lshrrev_b32_e32 v65, 27, v65
	s_delay_alu instid0(VALU_DEP_2) | instskip(NEXT) | instid1(VALU_DEP_1)
	v_add_nc_u32_e32 v64, v49, v64
	v_ashrrev_i32_e32 v66, 8, v64
	s_delay_alu instid0(VALU_DEP_1) | instskip(NEXT) | instid1(VALU_DEP_1)
	v_sub_nc_u32_e32 v64, v66, v69
	v_cmpx_lt_i32_e32 0, v64
	s_cbranch_execz .LBB2_1109
; %bb.1106:                             ;   in Loop: Header=BB2_1017 Depth=2
	v_add_nc_u32_e32 v67, v55, v65
	v_lshlrev_b32_e32 v68, 8, v69
	s_mov_b32 s19, 0
	s_delay_alu instid0(VALU_DEP_2) | instskip(NEXT) | instid1(VALU_DEP_1)
	v_and_b32_e32 v67, 0xffffffe0, v67
	v_sub_nc_u32_e32 v67, v55, v67
	s_delay_alu instid0(VALU_DEP_1) | instskip(NEXT) | instid1(VALU_DEP_1)
	v_add3_u32 v67, v48, v67, v68
	v_ashrrev_i32_e32 v68, 31, v67
.LBB2_1107:                             ;   Parent Loop BB2_47 Depth=1
                                        ;     Parent Loop BB2_1017 Depth=2
                                        ; =>    This Inner Loop Header: Depth=3
	v_add_co_u32 v118, vcc_lo, v67, v8
	s_wait_alu 0xfffd
	s_delay_alu instid0(VALU_DEP_2)
	v_add_co_ci_u32_e64 v119, null, v68, v9, vcc_lo
	v_sub_nc_u32_e32 v64, v64, v81
	s_clause 0x7
	flat_load_u8 v69, v[118:119] th:TH_LOAD_NT
	flat_load_u8 v128, v[118:119] offset:32 th:TH_LOAD_NT
	flat_load_u8 v129, v[118:119] offset:64 th:TH_LOAD_NT
	;; [unrolled: 1-line block ×7, first 2 shown]
	v_add_co_u32 v118, vcc_lo, v67, v10
	s_wait_alu 0xfffd
	v_add_co_ci_u32_e64 v119, null, v68, v11, vcc_lo
	v_add_co_u32 v8, vcc_lo, v8, v97
	s_wait_alu 0xfffd
	v_add_co_ci_u32_e64 v9, null, 0, v9, vcc_lo
	;; [unrolled: 3-line block ×3, first 2 shown]
	v_cmp_gt_i32_e32 vcc_lo, 1, v64
	s_wait_loadcnt_dscnt 0x707
	flat_store_b8 v[118:119], v69 th:TH_STORE_NT
	s_wait_loadcnt_dscnt 0x607
	flat_store_b8 v[118:119], v128 offset:32 th:TH_STORE_NT
	s_wait_loadcnt_dscnt 0x507
	flat_store_b8 v[118:119], v129 offset:64 th:TH_STORE_NT
	;; [unrolled: 2-line block ×7, first 2 shown]
	s_wait_alu 0xfffe
	s_or_b32 s19, vcc_lo, s19
	s_wait_alu 0xfffe
	s_and_not1_b32 exec_lo, exec_lo, s19
	s_cbranch_execnz .LBB2_1107
; %bb.1108:                             ;   in Loop: Header=BB2_1017 Depth=2
	s_or_b32 exec_lo, exec_lo, s19
.LBB2_1109:                             ;   in Loop: Header=BB2_1017 Depth=2
	s_wait_alu 0xfffe
	s_or_b32 exec_lo, exec_lo, s13
	v_lshlrev_b32_e32 v8, 8, v66
	s_delay_alu instid0(VALU_DEP_1)
	v_cmp_ne_u32_e32 vcc_lo, v49, v8
	s_and_b32 exec_lo, exec_lo, vcc_lo
	s_cbranch_execz .LBB2_1113
; %bb.1110:                             ;   in Loop: Header=BB2_1017 Depth=2
	v_add_nc_u32_e32 v9, v55, v65
	v_lshlrev_b32_e32 v10, 5, v64
	s_delay_alu instid0(VALU_DEP_2) | instskip(NEXT) | instid1(VALU_DEP_1)
	v_and_b32_e32 v9, 0xffffffe0, v9
	v_sub_nc_u32_e32 v9, v55, v9
	s_delay_alu instid0(VALU_DEP_1) | instskip(NEXT) | instid1(VALU_DEP_1)
	v_sub_nc_u32_e32 v9, v9, v10
	v_add_nc_u32_e32 v11, v8, v9
	s_delay_alu instid0(VALU_DEP_1) | instskip(NEXT) | instid1(VALU_DEP_1)
	v_sub_nc_u32_e32 v10, v49, v11
	v_cmp_lt_i32_e32 vcc_lo, 0, v10
	s_and_b32 exec_lo, exec_lo, vcc_lo
	s_cbranch_execz .LBB2_1113
; %bb.1111:                             ;   in Loop: Header=BB2_1017 Depth=2
	s_trap 2
	ds_load_b64 v[8:9], v0
	v_add_nc_u32_e32 v11, v11, v48
	s_mov_b32 s19, 0
	s_delay_alu instid0(VALU_DEP_1)
	v_ashrrev_i32_e32 v48, 31, v11
.LBB2_1112:                             ;   Parent Loop BB2_47 Depth=1
                                        ;     Parent Loop BB2_1017 Depth=2
                                        ; =>    This Inner Loop Header: Depth=3
	s_wait_dscnt 0x0
	v_add_co_u32 v64, vcc_lo, v8, v11
	s_wait_alu 0xfffd
	s_delay_alu instid0(VALU_DEP_2)
	v_add_co_ci_u32_e64 v65, null, v9, v48, vcc_lo
	v_sub_nc_u32_e32 v10, v10, v82
	v_add_co_u32 v11, s13, v11, v82
	flat_load_u8 v49, v[64:65] th:TH_LOAD_NT
	s_wait_alu 0xf1ff
	v_add_co_ci_u32_e64 v48, null, 0, v48, s13
	v_cmp_gt_i32_e32 vcc_lo, 1, v10
	s_wait_alu 0xfffe
	s_or_b32 s19, vcc_lo, s19
	s_wait_loadcnt_dscnt 0x0
	flat_store_b8 v[64:65], v49 th:TH_STORE_NT
	s_wait_alu 0xfffe
	s_and_not1_b32 exec_lo, exec_lo, s19
	s_cbranch_execnz .LBB2_1112
.LBB2_1113:                             ;   in Loop: Header=BB2_1017 Depth=2
	s_wait_alu 0xfffe
	s_or_b32 exec_lo, exec_lo, s14
	v_cmp_lt_i32_e64 s13, 0, v54
	s_and_saveexec_b32 s14, s2
	s_cbranch_execz .LBB2_1088
.LBB2_1114:                             ;   in Loop: Header=BB2_1017 Depth=2
	s_and_saveexec_b32 s19, s3
	s_wait_alu 0xfffe
	s_xor_b32 s19, exec_lo, s19
	s_cbranch_execz .LBB2_1129
; %bb.1115:                             ;   in Loop: Header=BB2_1017 Depth=2
	s_and_saveexec_b32 s20, s6
	s_cbranch_execz .LBB2_1128
; %bb.1116:                             ;   in Loop: Header=BB2_1017 Depth=2
	s_mov_b32 s22, exec_lo
	s_mov_b32 s21, exec_lo
	s_wait_alu 0xfffe
	v_mbcnt_lo_u32_b32 v8, s22, 0
	s_wait_storecnt 0x0
	s_wait_loadcnt_dscnt 0x0
	global_inv scope:SCOPE_DEV
	v_cmpx_eq_u32_e32 0, v8
	s_cbranch_execz .LBB2_1118
; %bb.1117:                             ;   in Loop: Header=BB2_1017 Depth=2
	s_bcnt1_i32_b32 s22, s22
	s_wait_alu 0xfffe
	v_dual_mov_b32 v9, v2 :: v_dual_mov_b32 v8, s22
	s_wait_loadcnt 0x0
	ds_add_u64 v0, v[8:9]
	s_trap 2
.LBB2_1118:                             ;   in Loop: Header=BB2_1017 Depth=2
	s_or_b32 exec_lo, exec_lo, s21
	s_trap 2
	ds_load_b64 v[8:9], v0
	s_wait_dscnt 0x0
	global_inv scope:SCOPE_SE
	v_add_co_u32 v12, vcc_lo, v12, v81
	s_wait_alu 0xfffd
	v_add_co_ci_u32_e64 v13, null, 0, v13, vcc_lo
	s_mov_b32 s21, exec_lo
	v_cmpx_lt_u64_e64 v[8:9], v[12:13]
	s_cbranch_execz .LBB2_1127
; %bb.1119:                             ;   in Loop: Header=BB2_1017 Depth=2
	s_mov_b32 s22, 0
	s_mov_b32 s25, 0
                                        ; implicit-def: $sgpr23
                                        ; implicit-def: $sgpr24
	s_branch .LBB2_1121
.LBB2_1120:                             ;   in Loop: Header=BB2_1121 Depth=3
	s_wait_alu 0xfffe
	s_or_b32 exec_lo, exec_lo, s27
	s_delay_alu instid0(SALU_CYCLE_1)
	s_and_b32 s26, exec_lo, s28
	s_wait_alu 0xfffe
	s_or_b32 s22, s26, s22
	s_and_not1_b32 s23, s23, exec_lo
	s_and_b32 s26, s24, exec_lo
	s_wait_alu 0xfffe
	s_or_b32 s23, s23, s26
	s_and_not1_b32 exec_lo, exec_lo, s22
	s_cbranch_execz .LBB2_1125
.LBB2_1121:                             ;   Parent Loop BB2_47 Depth=1
                                        ;     Parent Loop BB2_1017 Depth=2
                                        ; =>    This Inner Loop Header: Depth=3
	s_wait_alu 0xfffe
	s_add_co_i32 s25, s25, 1
	s_wait_alu 0xfffe
	s_cmp_lg_u32 s25, 0x2710
	s_cselect_b32 s26, -1, 0
	s_wait_alu 0xfffe
	s_and_b32 vcc_lo, exec_lo, s26
	s_wait_alu 0xfffe
	s_cbranch_vccz .LBB2_1123
; %bb.1122:                             ;   in Loop: Header=BB2_1121 Depth=3
	s_mov_b32 s28, -1
	s_or_b32 s24, s24, exec_lo
	s_and_saveexec_b32 s27, s26
	s_cbranch_execz .LBB2_1120
	s_branch .LBB2_1124
.LBB2_1123:                             ;   in Loop: Header=BB2_1121 Depth=3
	s_trap 2
	ds_load_b64 v[8:9], v0
	s_and_not1_b32 s26, s26, exec_lo
	s_mov_b32 s25, 0
	s_wait_loadcnt_dscnt 0x0
	flat_load_b32 v8, v[8:9] scope:SCOPE_SYS
	s_wait_loadcnt_dscnt 0x0
	global_inv scope:SCOPE_SYS
	v_cmp_eq_u32_e32 vcc_lo, 0, v8
	s_and_b32 s27, vcc_lo, exec_lo
	s_wait_alu 0xfffe
	s_or_b32 s26, s26, s27
	s_mov_b32 s28, -1
	s_or_b32 s24, s24, exec_lo
	s_wait_alu 0xfffe
	s_and_saveexec_b32 s27, s26
	s_cbranch_execz .LBB2_1120
.LBB2_1124:                             ;   in Loop: Header=BB2_1121 Depth=3
	s_sleep 1
	s_trap 2
	ds_load_b64 v[8:9], v0
	s_wait_dscnt 0x0
	global_inv scope:SCOPE_SE
	s_wait_alu 0xfffe
	s_and_not1_b32 s24, s24, exec_lo
	v_cmp_ge_u64_e32 vcc_lo, v[8:9], v[12:13]
	s_or_not1_b32 s28, vcc_lo, exec_lo
	s_branch .LBB2_1120
.LBB2_1125:                             ;   in Loop: Header=BB2_1017 Depth=2
	s_or_b32 exec_lo, exec_lo, s22
	s_wait_alu 0xfffe
	s_and_saveexec_b32 s22, s23
	s_wait_alu 0xfffe
	s_xor_b32 s22, exec_lo, s22
	s_cbranch_execz .LBB2_1127
; %bb.1126:                             ;   in Loop: Header=BB2_1017 Depth=2
	ds_store_b32 v0, v84
	s_trap 2
.LBB2_1127:                             ;   in Loop: Header=BB2_1017 Depth=2
	s_wait_alu 0xfffe
	s_or_b32 exec_lo, exec_lo, s21
	;;#ASMSTART
	s_wakeup
	;;#ASMEND
.LBB2_1128:                             ;   in Loop: Header=BB2_1017 Depth=2
	s_wait_alu 0xfffe
	s_or_b32 exec_lo, exec_lo, s20
.LBB2_1129:                             ;   in Loop: Header=BB2_1017 Depth=2
	s_wait_alu 0xfffe
	s_and_not1_saveexec_b32 s19, s19
	s_cbranch_execz .LBB2_1131
; %bb.1130:                             ;   in Loop: Header=BB2_1017 Depth=2
	s_wait_storecnt 0x0
	s_wait_loadcnt_dscnt 0x0
	global_inv scope:SCOPE_DEV
	s_barrier_signal -1
	s_barrier_wait -1
.LBB2_1131:                             ;   in Loop: Header=BB2_1017 Depth=2
	s_wait_alu 0xfffe
	s_or_b32 exec_lo, exec_lo, s19
	s_delay_alu instid0(SALU_CYCLE_1)
	s_or_b32 exec_lo, exec_lo, s14
	s_and_saveexec_b32 s14, s7
	s_wait_alu 0xfffe
	s_xor_b32 s14, exec_lo, s14
	s_cbranch_execnz .LBB2_1089
.LBB2_1132:                             ;   in Loop: Header=BB2_1017 Depth=2
	s_wait_alu 0xfffe
	s_and_not1_saveexec_b32 s13, s14
	s_cbranch_execz .LBB2_1151
.LBB2_1133:                             ;   in Loop: Header=BB2_1017 Depth=2
	s_and_saveexec_b32 s14, s3
	s_wait_alu 0xfffe
	s_xor_b32 s14, exec_lo, s14
	s_cbranch_execz .LBB2_1148
; %bb.1134:                             ;   in Loop: Header=BB2_1017 Depth=2
	s_and_saveexec_b32 s19, s6
	s_cbranch_execz .LBB2_1147
; %bb.1135:                             ;   in Loop: Header=BB2_1017 Depth=2
	s_mov_b32 s21, exec_lo
	s_mov_b32 s20, exec_lo
	s_wait_alu 0xfffe
	v_mbcnt_lo_u32_b32 v8, s21, 0
	;;#ASMSTART
	s_waitcnt lgkmcnt(0) vmcnt(0)
	;;#ASMEND
	s_delay_alu instid0(VALU_DEP_1)
	v_cmpx_eq_u32_e32 0, v8
	s_cbranch_execz .LBB2_1137
; %bb.1136:                             ;   in Loop: Header=BB2_1017 Depth=2
	s_bcnt1_i32_b32 s21, s21
	s_wait_alu 0xfffe
	v_dual_mov_b32 v9, v2 :: v_dual_mov_b32 v8, s21
	s_wait_storecnt 0x0
	s_wait_loadcnt_dscnt 0x0
	ds_add_u64 v0, v[8:9]
	s_trap 2
.LBB2_1137:                             ;   in Loop: Header=BB2_1017 Depth=2
	s_or_b32 exec_lo, exec_lo, s20
	s_trap 2
	ds_load_b64 v[8:9], v0
	s_wait_dscnt 0x0
	global_inv scope:SCOPE_SE
	v_add_co_u32 v12, vcc_lo, v12, v81
	s_wait_alu 0xfffd
	v_add_co_ci_u32_e64 v13, null, 0, v13, vcc_lo
	s_mov_b32 s20, exec_lo
	v_cmpx_lt_u64_e64 v[8:9], v[12:13]
	s_cbranch_execz .LBB2_1146
; %bb.1138:                             ;   in Loop: Header=BB2_1017 Depth=2
	s_mov_b32 s21, 0
	s_mov_b32 s24, 0
                                        ; implicit-def: $sgpr22
                                        ; implicit-def: $sgpr23
	s_branch .LBB2_1140
.LBB2_1139:                             ;   in Loop: Header=BB2_1140 Depth=3
	s_wait_alu 0xfffe
	s_or_b32 exec_lo, exec_lo, s26
	s_delay_alu instid0(SALU_CYCLE_1)
	s_and_b32 s25, exec_lo, s27
	s_wait_alu 0xfffe
	s_or_b32 s21, s25, s21
	s_and_not1_b32 s22, s22, exec_lo
	s_and_b32 s25, s23, exec_lo
	s_wait_alu 0xfffe
	s_or_b32 s22, s22, s25
	s_and_not1_b32 exec_lo, exec_lo, s21
	s_cbranch_execz .LBB2_1144
.LBB2_1140:                             ;   Parent Loop BB2_47 Depth=1
                                        ;     Parent Loop BB2_1017 Depth=2
                                        ; =>    This Inner Loop Header: Depth=3
	s_wait_alu 0xfffe
	s_add_co_i32 s24, s24, 1
	s_wait_alu 0xfffe
	s_cmp_lg_u32 s24, 0x2710
	s_cselect_b32 s25, -1, 0
	s_wait_alu 0xfffe
	s_and_b32 vcc_lo, exec_lo, s25
	s_wait_alu 0xfffe
	s_cbranch_vccz .LBB2_1142
; %bb.1141:                             ;   in Loop: Header=BB2_1140 Depth=3
	s_mov_b32 s27, -1
	s_or_b32 s23, s23, exec_lo
	s_and_saveexec_b32 s26, s25
	s_cbranch_execz .LBB2_1139
	s_branch .LBB2_1143
.LBB2_1142:                             ;   in Loop: Header=BB2_1140 Depth=3
	s_trap 2
	ds_load_b64 v[8:9], v0
	s_and_not1_b32 s25, s25, exec_lo
	s_mov_b32 s24, 0
	s_wait_storecnt 0x0
	s_wait_loadcnt_dscnt 0x0
	flat_load_b32 v8, v[8:9] scope:SCOPE_SYS
	s_wait_loadcnt_dscnt 0x0
	global_inv scope:SCOPE_SYS
	v_cmp_eq_u32_e32 vcc_lo, 0, v8
	s_and_b32 s26, vcc_lo, exec_lo
	s_wait_alu 0xfffe
	s_or_b32 s25, s25, s26
	s_mov_b32 s27, -1
	s_or_b32 s23, s23, exec_lo
	s_wait_alu 0xfffe
	s_and_saveexec_b32 s26, s25
	s_cbranch_execz .LBB2_1139
.LBB2_1143:                             ;   in Loop: Header=BB2_1140 Depth=3
	s_sleep 1
	s_trap 2
	ds_load_b64 v[8:9], v0
	s_wait_dscnt 0x0
	global_inv scope:SCOPE_SE
	s_wait_alu 0xfffe
	s_and_not1_b32 s23, s23, exec_lo
	v_cmp_ge_u64_e32 vcc_lo, v[8:9], v[12:13]
	s_or_not1_b32 s27, vcc_lo, exec_lo
	s_branch .LBB2_1139
.LBB2_1144:                             ;   in Loop: Header=BB2_1017 Depth=2
	s_or_b32 exec_lo, exec_lo, s21
	s_wait_alu 0xfffe
	s_and_saveexec_b32 s21, s22
	s_wait_alu 0xfffe
	s_xor_b32 s21, exec_lo, s21
	s_cbranch_execz .LBB2_1146
; %bb.1145:                             ;   in Loop: Header=BB2_1017 Depth=2
	ds_store_b32 v0, v84
	s_trap 2
.LBB2_1146:                             ;   in Loop: Header=BB2_1017 Depth=2
	s_wait_alu 0xfffe
	s_or_b32 exec_lo, exec_lo, s20
	;;#ASMSTART
	s_wakeup
	;;#ASMEND
.LBB2_1147:                             ;   in Loop: Header=BB2_1017 Depth=2
	s_wait_alu 0xfffe
	s_or_b32 exec_lo, exec_lo, s19
.LBB2_1148:                             ;   in Loop: Header=BB2_1017 Depth=2
	s_wait_alu 0xfffe
	s_and_not1_saveexec_b32 s14, s14
	s_cbranch_execz .LBB2_1150
; %bb.1149:                             ;   in Loop: Header=BB2_1017 Depth=2
	;;#ASMSTART
	s_waitcnt lgkmcnt(0) vmcnt(0)
	;;#ASMEND
	s_barrier_signal -1
	s_barrier_wait -1
.LBB2_1150:                             ;   in Loop: Header=BB2_1017 Depth=2
	s_wait_alu 0xfffe
	s_or_b32 exec_lo, exec_lo, s14
.LBB2_1151:                             ;   in Loop: Header=BB2_1017 Depth=2
	s_wait_alu 0xfffe
	s_or_b32 exec_lo, exec_lo, s13
	v_and_b32_e32 v8, 32, v70
	s_mov_b32 s13, exec_lo
	s_delay_alu instid0(VALU_DEP_1)
	v_cmpx_ne_u32_e32 0, v8
	s_cbranch_execz .LBB2_1016
; %bb.1152:                             ;   in Loop: Header=BB2_1017 Depth=2
	v_add_co_u32 v38, vcc_lo, v38, 2
	s_wait_alu 0xfffd
	v_add_co_ci_u32_e64 v39, null, 0, v39, vcc_lo
	global_wb scope:SCOPE_SYS
	s_wait_storecnt 0x0
	s_wait_loadcnt_dscnt 0x0
	flat_store_b64 v[20:21], v[38:39] scope:SCOPE_SYS
	s_branch .LBB2_1016
.LBB2_1153:                             ;   in Loop: Header=BB2_47 Depth=1
	s_or_b32 exec_lo, exec_lo, s16
.LBB2_1154:                             ;   in Loop: Header=BB2_47 Depth=1
	s_wait_alu 0xfffe
	s_or_b32 exec_lo, exec_lo, s15
	s_delay_alu instid0(SALU_CYCLE_1)
	s_mov_b32 s14, exec_lo
	v_cmpx_gt_i32_e32 2, v10
	s_cbranch_execz .LBB2_46
; %bb.1155:                             ;   in Loop: Header=BB2_47 Depth=1
	v_cmp_eq_u32_e64 s16, 0, v10
	s_mov_b32 s15, 0
	s_branch .LBB2_1157
.LBB2_1156:                             ;   in Loop: Header=BB2_1157 Depth=2
	s_wait_alu 0xfffe
	s_or_b32 exec_lo, exec_lo, s13
	v_add_nc_u32_e32 v51, v50, v51
	s_mov_b32 s16, 0
	s_and_not1_b32 exec_lo, exec_lo, s15
	s_cbranch_execz .LBB2_45
.LBB2_1157:                             ;   Parent Loop BB2_47 Depth=1
                                        ; =>  This Loop Header: Depth=2
                                        ;       Child Loop BB2_1163 Depth 3
                                        ;       Child Loop BB2_1187 Depth 3
	;; [unrolled: 1-line block ×3, first 2 shown]
	v_and_b32_e32 v8, 4, v70
	s_mov_b32 s17, exec_lo
	s_delay_alu instid0(VALU_DEP_1)
	v_cmpx_ne_u32_e32 0, v8
	s_cbranch_execz .LBB2_1179
; %bb.1158:                             ;   in Loop: Header=BB2_1157 Depth=2
	v_add_co_u32 v8, vcc_lo, v38, 2
	s_wait_alu 0xfffd
	v_add_co_ci_u32_e64 v9, null, 0, v39, vcc_lo
	s_mov_b32 s18, exec_lo
	v_cmpx_lt_u64_e64 v[26:27], v[8:9]
	s_cbranch_execz .LBB2_1170
; %bb.1159:                             ;   in Loop: Header=BB2_1157 Depth=2
	v_and_b32_e32 v10, 64, v70
	s_mov_b32 s19, 0
	s_mov_b32 s23, 0
                                        ; implicit-def: $sgpr20
                                        ; implicit-def: $sgpr21
                                        ; implicit-def: $sgpr22
	s_delay_alu instid0(VALU_DEP_1)
	v_cmp_eq_u32_e32 vcc_lo, 0, v10
	s_branch .LBB2_1163
.LBB2_1160:                             ;   in Loop: Header=BB2_1163 Depth=3
	v_cmp_ge_u64_e64 s13, v[26:27], v[8:9]
	s_or_b32 s26, s26, exec_lo
	s_or_not1_b32 s25, s13, exec_lo
.LBB2_1161:                             ;   in Loop: Header=BB2_1163 Depth=3
	s_wait_alu 0xfffe
	s_or_b32 exec_lo, exec_lo, s28
	s_delay_alu instid0(SALU_CYCLE_1)
	s_and_not1_b32 s13, s22, exec_lo
	s_and_b32 s22, s26, exec_lo
	s_and_not1_b32 s21, s21, exec_lo
	s_and_b32 s25, s25, exec_lo
	s_wait_alu 0xfffe
	s_or_b32 s22, s13, s22
	s_or_b32 s21, s21, s25
.LBB2_1162:                             ;   in Loop: Header=BB2_1163 Depth=3
	s_wait_alu 0xfffe
	s_or_b32 exec_lo, exec_lo, s24
	s_delay_alu instid0(SALU_CYCLE_1)
	s_and_b32 s13, exec_lo, s21
	s_wait_alu 0xfffe
	s_or_b32 s19, s13, s19
	s_and_not1_b32 s13, s20, exec_lo
	s_and_b32 s20, s22, exec_lo
	s_wait_alu 0xfffe
	s_or_b32 s20, s13, s20
	s_and_not1_b32 exec_lo, exec_lo, s19
	s_cbranch_execz .LBB2_1167
.LBB2_1163:                             ;   Parent Loop BB2_47 Depth=1
                                        ;     Parent Loop BB2_1157 Depth=2
                                        ; =>    This Inner Loop Header: Depth=3
	s_sleep 1
	flat_load_b64 v[26:27], v[20:21] scope:SCOPE_SYS
	s_wait_loadcnt_dscnt 0x0
	global_inv scope:SCOPE_SYS
	s_or_b32 s22, s22, exec_lo
	s_or_b32 s21, s21, exec_lo
                                        ; implicit-def: $vgpr10
	s_and_saveexec_b32 s24, vcc_lo
	s_cbranch_execz .LBB2_1162
; %bb.1164:                             ;   in Loop: Header=BB2_1163 Depth=3
	s_wait_alu 0xfffe
	s_cmp_lt_i32 s23, 0x270f
	s_mov_b32 s25, -1
	s_cselect_b32 s27, -1, 0
	s_cmp_gt_i32 s23, 0x270e
	s_cbranch_scc0 .LBB2_1166
; %bb.1165:                             ;   in Loop: Header=BB2_1163 Depth=3
	s_trap 2
	ds_load_b64 v[10:11], v0
	s_wait_alu 0xfffe
	s_and_not1_b32 s23, s27, exec_lo
	s_mov_b32 s26, 0
	s_wait_storecnt 0x0
	s_wait_loadcnt_dscnt 0x0
	flat_load_b32 v10, v[10:11] scope:SCOPE_SYS
	s_wait_loadcnt_dscnt 0x0
	global_inv scope:SCOPE_SYS
	v_cmp_eq_u32_e64 s13, 0, v10
	s_and_b32 s13, s13, exec_lo
	s_wait_alu 0xfffe
	s_or_b32 s27, s23, s13
	s_mov_b32 s23, 0
	s_wait_alu 0xfffe
	s_and_saveexec_b32 s28, s27
	s_cbranch_execz .LBB2_1161
	s_branch .LBB2_1160
.LBB2_1166:                             ;   in Loop: Header=BB2_1163 Depth=3
	s_add_co_i32 s23, s23, 1
	s_mov_b32 s26, -1
                                        ; implicit-def: $vgpr10
	s_wait_alu 0xfffe
	s_and_saveexec_b32 s28, s27
	s_cbranch_execz .LBB2_1161
	s_branch .LBB2_1160
.LBB2_1167:                             ;   in Loop: Header=BB2_1157 Depth=2
	s_or_b32 exec_lo, exec_lo, s19
	s_wait_alu 0xfffe
	s_xor_b32 s13, s20, -1
	s_wait_alu 0xfffe
	s_and_saveexec_b32 s19, s13
	s_wait_alu 0xfffe
	s_xor_b32 s13, exec_lo, s19
	s_cbranch_execz .LBB2_1169
; %bb.1168:                             ;   in Loop: Header=BB2_1157 Depth=2
	v_or_b32_e32 v70, 64, v70
	s_wait_loadcnt 0x0
	s_wait_storecnt 0x0
	ds_store_b32 v0, v10
	s_trap 2
.LBB2_1169:                             ;   in Loop: Header=BB2_1157 Depth=2
	s_wait_alu 0xfffe
	s_or_b32 exec_lo, exec_lo, s13
.LBB2_1170:                             ;   in Loop: Header=BB2_1157 Depth=2
	s_wait_alu 0xfffe
	s_or_b32 exec_lo, exec_lo, s18
	v_and_b32_e32 v10, 0x100, v70
	v_and_b32_e32 v48, 7, v38
	s_mov_b32 s13, -1
	;;#ASMSTART
	s_wakeup
	;;#ASMEND
	s_delay_alu instid0(VALU_DEP_2)
	v_cmp_ne_u32_e32 vcc_lo, 0, v10
                                        ; implicit-def: $vgpr10_vgpr11
	s_and_saveexec_b32 s18, vcc_lo
	s_cbranch_execz .LBB2_1174
; %bb.1171:                             ;   in Loop: Header=BB2_1157 Depth=2
	v_mad_co_u64_u32 v[38:39], null, v48, 24, v[6:7]
	flat_load_b32 v10, v[38:39]
	s_wait_loadcnt_dscnt 0x0
	v_cmp_eq_u32_e64 s13, 1, v10
	v_cmp_ne_u32_e32 vcc_lo, 1, v10
                                        ; implicit-def: $vgpr10_vgpr11
	s_wait_alu 0xfffe
	s_and_saveexec_b32 s19, s13
	s_cbranch_execz .LBB2_1173
; %bb.1172:                             ;   in Loop: Header=BB2_1157 Depth=2
	flat_load_b32 v10, v[38:39] offset:4 scope:SCOPE_SYS
	s_wait_loadcnt_dscnt 0x0
	v_ashrrev_i32_e32 v11, 31, v10
.LBB2_1173:                             ;   in Loop: Header=BB2_1157 Depth=2
	s_wait_alu 0xfffe
	s_or_b32 exec_lo, exec_lo, s19
	s_delay_alu instid0(SALU_CYCLE_1)
	s_or_not1_b32 s13, vcc_lo, exec_lo
.LBB2_1174:                             ;   in Loop: Header=BB2_1157 Depth=2
	s_wait_alu 0xfffe
	s_or_b32 exec_lo, exec_lo, s18
	s_and_saveexec_b32 s18, s13
; %bb.1175:                             ;   in Loop: Header=BB2_1157 Depth=2
	v_mad_co_i64_i32 v[10:11], null, v48, v71, 0
; %bb.1176:                             ;   in Loop: Header=BB2_1157 Depth=2
	s_wait_alu 0xfffe
	s_or_b32 exec_lo, exec_lo, s18
	s_delay_alu instid0(VALU_DEP_1) | instskip(SKIP_2) | instid1(VALU_DEP_3)
	v_add_co_u32 v10, vcc_lo, v22, v10
	v_and_b32_e32 v38, 0x2000, v70
	s_wait_alu 0xfffd
	v_add_co_ci_u32_e64 v11, null, v23, v11, vcc_lo
	s_mov_b32 s13, exec_lo
	ds_store_b64 v0, v[10:11] offset:720
	v_cmpx_ne_u32_e32 0, v38
	s_cbranch_execz .LBB2_1178
; %bb.1177:                             ;   in Loop: Header=BB2_1157 Depth=2
	ds_load_b64 v[10:11], v0 offset:872
	s_wait_dscnt 0x0
	v_add_co_u32 v10, vcc_lo, v10, 1
	s_wait_alu 0xfffd
	v_add_co_ci_u32_e64 v11, null, 0, v11, vcc_lo
	ds_store_b64 v0, v[10:11] offset:872
.LBB2_1178:                             ;   in Loop: Header=BB2_1157 Depth=2
	s_wait_alu 0xfffe
	s_or_b32 exec_lo, exec_lo, s13
	v_dual_mov_b32 v39, v9 :: v_dual_mov_b32 v38, v8
.LBB2_1179:                             ;   in Loop: Header=BB2_1157 Depth=2
	s_wait_alu 0xfffe
	s_or_b32 exec_lo, exec_lo, s17
	s_xor_b32 s13, s16, -1
	s_wait_alu 0xfffe
	s_and_b32 s13, exec_lo, s13
	s_wait_alu 0xfffe
	s_or_b32 s15, s13, s15
	s_and_saveexec_b32 s13, s2
	s_cbranch_execz .LBB2_1198
; %bb.1180:                             ;   in Loop: Header=BB2_1157 Depth=2
	s_and_saveexec_b32 s16, s3
	s_wait_alu 0xfffe
	s_xor_b32 s16, exec_lo, s16
	s_cbranch_execz .LBB2_1195
; %bb.1181:                             ;   in Loop: Header=BB2_1157 Depth=2
	s_and_saveexec_b32 s17, s6
	s_cbranch_execz .LBB2_1194
; %bb.1182:                             ;   in Loop: Header=BB2_1157 Depth=2
	s_mov_b32 s19, exec_lo
	s_mov_b32 s18, exec_lo
	s_wait_alu 0xfffe
	v_mbcnt_lo_u32_b32 v8, s19, 0
	s_wait_storecnt 0x0
	s_wait_loadcnt_dscnt 0x0
	global_inv scope:SCOPE_DEV
	v_cmpx_eq_u32_e32 0, v8
	s_cbranch_execz .LBB2_1184
; %bb.1183:                             ;   in Loop: Header=BB2_1157 Depth=2
	s_bcnt1_i32_b32 s19, s19
	s_wait_alu 0xfffe
	v_dual_mov_b32 v9, v2 :: v_dual_mov_b32 v8, s19
	s_wait_loadcnt 0x0
	ds_add_u64 v0, v[8:9]
	s_trap 2
.LBB2_1184:                             ;   in Loop: Header=BB2_1157 Depth=2
	s_or_b32 exec_lo, exec_lo, s18
	s_trap 2
	ds_load_b64 v[8:9], v0
	s_wait_dscnt 0x0
	global_inv scope:SCOPE_SE
	v_add_co_u32 v12, vcc_lo, v12, v81
	s_wait_alu 0xfffd
	v_add_co_ci_u32_e64 v13, null, 0, v13, vcc_lo
	s_mov_b32 s18, exec_lo
	v_cmpx_lt_u64_e64 v[8:9], v[12:13]
	s_cbranch_execz .LBB2_1193
; %bb.1185:                             ;   in Loop: Header=BB2_1157 Depth=2
	s_mov_b32 s19, 0
	s_mov_b32 s22, 0
                                        ; implicit-def: $sgpr20
                                        ; implicit-def: $sgpr21
	s_branch .LBB2_1187
.LBB2_1186:                             ;   in Loop: Header=BB2_1187 Depth=3
	s_wait_alu 0xfffe
	s_or_b32 exec_lo, exec_lo, s24
	s_delay_alu instid0(SALU_CYCLE_1)
	s_and_b32 s23, exec_lo, s25
	s_wait_alu 0xfffe
	s_or_b32 s19, s23, s19
	s_and_not1_b32 s20, s20, exec_lo
	s_and_b32 s23, s21, exec_lo
	s_wait_alu 0xfffe
	s_or_b32 s20, s20, s23
	s_and_not1_b32 exec_lo, exec_lo, s19
	s_cbranch_execz .LBB2_1191
.LBB2_1187:                             ;   Parent Loop BB2_47 Depth=1
                                        ;     Parent Loop BB2_1157 Depth=2
                                        ; =>    This Inner Loop Header: Depth=3
	s_wait_alu 0xfffe
	s_add_co_i32 s22, s22, 1
	s_wait_alu 0xfffe
	s_cmp_lg_u32 s22, 0x2710
	s_cselect_b32 s23, -1, 0
	s_wait_alu 0xfffe
	s_and_b32 vcc_lo, exec_lo, s23
	s_wait_alu 0xfffe
	s_cbranch_vccz .LBB2_1189
; %bb.1188:                             ;   in Loop: Header=BB2_1187 Depth=3
	s_mov_b32 s25, -1
	s_or_b32 s21, s21, exec_lo
	s_and_saveexec_b32 s24, s23
	s_cbranch_execz .LBB2_1186
	s_branch .LBB2_1190
.LBB2_1189:                             ;   in Loop: Header=BB2_1187 Depth=3
	s_trap 2
	ds_load_b64 v[8:9], v0
	s_and_not1_b32 s23, s23, exec_lo
	s_mov_b32 s22, 0
	s_wait_loadcnt_dscnt 0x0
	flat_load_b32 v8, v[8:9] scope:SCOPE_SYS
	s_wait_loadcnt_dscnt 0x0
	global_inv scope:SCOPE_SYS
	v_cmp_eq_u32_e32 vcc_lo, 0, v8
	s_and_b32 s24, vcc_lo, exec_lo
	s_wait_alu 0xfffe
	s_or_b32 s23, s23, s24
	s_mov_b32 s25, -1
	s_or_b32 s21, s21, exec_lo
	s_wait_alu 0xfffe
	s_and_saveexec_b32 s24, s23
	s_cbranch_execz .LBB2_1186
.LBB2_1190:                             ;   in Loop: Header=BB2_1187 Depth=3
	s_sleep 1
	s_trap 2
	ds_load_b64 v[8:9], v0
	s_wait_dscnt 0x0
	global_inv scope:SCOPE_SE
	s_wait_alu 0xfffe
	s_and_not1_b32 s21, s21, exec_lo
	v_cmp_ge_u64_e32 vcc_lo, v[8:9], v[12:13]
	s_or_not1_b32 s25, vcc_lo, exec_lo
	s_branch .LBB2_1186
.LBB2_1191:                             ;   in Loop: Header=BB2_1157 Depth=2
	s_or_b32 exec_lo, exec_lo, s19
	s_wait_alu 0xfffe
	s_and_saveexec_b32 s19, s20
	s_wait_alu 0xfffe
	s_xor_b32 s19, exec_lo, s19
	s_cbranch_execz .LBB2_1193
; %bb.1192:                             ;   in Loop: Header=BB2_1157 Depth=2
	ds_store_b32 v0, v84
	s_trap 2
.LBB2_1193:                             ;   in Loop: Header=BB2_1157 Depth=2
	s_wait_alu 0xfffe
	s_or_b32 exec_lo, exec_lo, s18
	;;#ASMSTART
	s_wakeup
	;;#ASMEND
.LBB2_1194:                             ;   in Loop: Header=BB2_1157 Depth=2
	s_wait_alu 0xfffe
	s_or_b32 exec_lo, exec_lo, s17
.LBB2_1195:                             ;   in Loop: Header=BB2_1157 Depth=2
	s_wait_alu 0xfffe
	s_and_not1_saveexec_b32 s16, s16
	s_cbranch_execz .LBB2_1197
; %bb.1196:                             ;   in Loop: Header=BB2_1157 Depth=2
	s_wait_storecnt 0x0
	s_wait_loadcnt_dscnt 0x0
	global_inv scope:SCOPE_DEV
	s_barrier_signal -1
	s_barrier_wait -1
.LBB2_1197:                             ;   in Loop: Header=BB2_1157 Depth=2
	s_wait_alu 0xfffe
	s_or_b32 exec_lo, exec_lo, s16
.LBB2_1198:                             ;   in Loop: Header=BB2_1157 Depth=2
	s_wait_alu 0xfffe
	s_or_b32 exec_lo, exec_lo, s13
	v_sub_nc_u32_e32 v8, v3, v51
	s_delay_alu instid0(VALU_DEP_1)
	v_min_i32_e32 v50, v50, v8
	s_and_saveexec_b32 s13, s7
	s_wait_alu 0xfffe
	s_xor_b32 s16, exec_lo, s13
	s_cbranch_execz .LBB2_1202
; %bb.1199:                             ;   in Loop: Header=BB2_1157 Depth=2
	s_trap 2
	ds_load_b32 v8, v0
	v_cmp_lt_i32_e32 vcc_lo, 0, v50
	s_wait_dscnt 0x0
	v_readfirstlane_b32 s13, v8
	v_and_b32_e32 v8, 16, v70
	s_cmp_eq_u32 s13, 0
	s_delay_alu instid0(VALU_DEP_1)
	v_cmp_ne_u32_e64 s13, 0, v8
	s_cselect_b32 s17, -1, 0
	s_wait_alu 0xfffe
	s_and_b32 s17, vcc_lo, s17
	s_wait_alu 0xfffe
	s_and_b32 s17, s13, s17
	s_wait_alu 0xfffe
	s_and_saveexec_b32 s13, s17
	s_cbranch_execz .LBB2_1201
; %bb.1200:                             ;   in Loop: Header=BB2_1157 Depth=2
	global_wb scope:SCOPE_SYS
	s_wait_loadcnt 0x0
	s_wait_storecnt 0x0
	global_inv scope:SCOPE_SYS
.LBB2_1201:                             ;   in Loop: Header=BB2_1157 Depth=2
	s_wait_alu 0xfffe
	s_or_b32 exec_lo, exec_lo, s13
.LBB2_1202:                             ;   in Loop: Header=BB2_1157 Depth=2
	s_wait_alu 0xfffe
	s_and_not1_saveexec_b32 s13, s16
	s_cbranch_execz .LBB2_1221
; %bb.1203:                             ;   in Loop: Header=BB2_1157 Depth=2
	s_and_saveexec_b32 s16, s3
	s_wait_alu 0xfffe
	s_xor_b32 s16, exec_lo, s16
	s_cbranch_execz .LBB2_1218
; %bb.1204:                             ;   in Loop: Header=BB2_1157 Depth=2
	s_and_saveexec_b32 s17, s6
	s_cbranch_execz .LBB2_1217
; %bb.1205:                             ;   in Loop: Header=BB2_1157 Depth=2
	s_mov_b32 s19, exec_lo
	s_mov_b32 s18, exec_lo
	s_wait_alu 0xfffe
	v_mbcnt_lo_u32_b32 v8, s19, 0
	;;#ASMSTART
	s_waitcnt lgkmcnt(0) vmcnt(0)
	;;#ASMEND
	s_delay_alu instid0(VALU_DEP_1)
	v_cmpx_eq_u32_e32 0, v8
	s_cbranch_execz .LBB2_1207
; %bb.1206:                             ;   in Loop: Header=BB2_1157 Depth=2
	s_bcnt1_i32_b32 s19, s19
	s_wait_alu 0xfffe
	v_dual_mov_b32 v9, v2 :: v_dual_mov_b32 v8, s19
	s_wait_storecnt 0x0
	s_wait_loadcnt_dscnt 0x0
	ds_add_u64 v0, v[8:9]
	s_trap 2
.LBB2_1207:                             ;   in Loop: Header=BB2_1157 Depth=2
	s_or_b32 exec_lo, exec_lo, s18
	s_trap 2
	ds_load_b64 v[8:9], v0
	s_wait_dscnt 0x0
	global_inv scope:SCOPE_SE
	v_add_co_u32 v12, vcc_lo, v12, v81
	s_wait_alu 0xfffd
	v_add_co_ci_u32_e64 v13, null, 0, v13, vcc_lo
	s_mov_b32 s18, exec_lo
	v_cmpx_lt_u64_e64 v[8:9], v[12:13]
	s_cbranch_execz .LBB2_1216
; %bb.1208:                             ;   in Loop: Header=BB2_1157 Depth=2
	s_mov_b32 s19, 0
	s_mov_b32 s22, 0
                                        ; implicit-def: $sgpr20
                                        ; implicit-def: $sgpr21
	s_branch .LBB2_1210
.LBB2_1209:                             ;   in Loop: Header=BB2_1210 Depth=3
	s_wait_alu 0xfffe
	s_or_b32 exec_lo, exec_lo, s24
	s_delay_alu instid0(SALU_CYCLE_1)
	s_and_b32 s23, exec_lo, s25
	s_wait_alu 0xfffe
	s_or_b32 s19, s23, s19
	s_and_not1_b32 s20, s20, exec_lo
	s_and_b32 s23, s21, exec_lo
	s_wait_alu 0xfffe
	s_or_b32 s20, s20, s23
	s_and_not1_b32 exec_lo, exec_lo, s19
	s_cbranch_execz .LBB2_1214
.LBB2_1210:                             ;   Parent Loop BB2_47 Depth=1
                                        ;     Parent Loop BB2_1157 Depth=2
                                        ; =>    This Inner Loop Header: Depth=3
	s_wait_alu 0xfffe
	s_add_co_i32 s22, s22, 1
	s_wait_alu 0xfffe
	s_cmp_lg_u32 s22, 0x2710
	s_cselect_b32 s23, -1, 0
	s_wait_alu 0xfffe
	s_and_b32 vcc_lo, exec_lo, s23
	s_wait_alu 0xfffe
	s_cbranch_vccz .LBB2_1212
; %bb.1211:                             ;   in Loop: Header=BB2_1210 Depth=3
	s_mov_b32 s25, -1
	s_or_b32 s21, s21, exec_lo
	s_and_saveexec_b32 s24, s23
	s_cbranch_execz .LBB2_1209
	s_branch .LBB2_1213
.LBB2_1212:                             ;   in Loop: Header=BB2_1210 Depth=3
	s_trap 2
	ds_load_b64 v[8:9], v0
	s_and_not1_b32 s23, s23, exec_lo
	s_mov_b32 s22, 0
	s_wait_storecnt 0x0
	s_wait_loadcnt_dscnt 0x0
	flat_load_b32 v8, v[8:9] scope:SCOPE_SYS
	s_wait_loadcnt_dscnt 0x0
	global_inv scope:SCOPE_SYS
	v_cmp_eq_u32_e32 vcc_lo, 0, v8
	s_and_b32 s24, vcc_lo, exec_lo
	s_wait_alu 0xfffe
	s_or_b32 s23, s23, s24
	s_mov_b32 s25, -1
	s_or_b32 s21, s21, exec_lo
	s_wait_alu 0xfffe
	s_and_saveexec_b32 s24, s23
	s_cbranch_execz .LBB2_1209
.LBB2_1213:                             ;   in Loop: Header=BB2_1210 Depth=3
	s_sleep 1
	s_trap 2
	ds_load_b64 v[8:9], v0
	s_wait_dscnt 0x0
	global_inv scope:SCOPE_SE
	s_wait_alu 0xfffe
	s_and_not1_b32 s21, s21, exec_lo
	v_cmp_ge_u64_e32 vcc_lo, v[8:9], v[12:13]
	s_or_not1_b32 s25, vcc_lo, exec_lo
	s_branch .LBB2_1209
.LBB2_1214:                             ;   in Loop: Header=BB2_1157 Depth=2
	s_or_b32 exec_lo, exec_lo, s19
	s_wait_alu 0xfffe
	s_and_saveexec_b32 s19, s20
	s_wait_alu 0xfffe
	s_xor_b32 s19, exec_lo, s19
	s_cbranch_execz .LBB2_1216
; %bb.1215:                             ;   in Loop: Header=BB2_1157 Depth=2
	ds_store_b32 v0, v84
	s_trap 2
.LBB2_1216:                             ;   in Loop: Header=BB2_1157 Depth=2
	s_wait_alu 0xfffe
	s_or_b32 exec_lo, exec_lo, s18
	;;#ASMSTART
	s_wakeup
	;;#ASMEND
.LBB2_1217:                             ;   in Loop: Header=BB2_1157 Depth=2
	s_wait_alu 0xfffe
	s_or_b32 exec_lo, exec_lo, s17
.LBB2_1218:                             ;   in Loop: Header=BB2_1157 Depth=2
	s_wait_alu 0xfffe
	s_and_not1_saveexec_b32 s16, s16
	s_cbranch_execz .LBB2_1220
; %bb.1219:                             ;   in Loop: Header=BB2_1157 Depth=2
	;;#ASMSTART
	s_waitcnt lgkmcnt(0) vmcnt(0)
	;;#ASMEND
	s_barrier_signal -1
	s_barrier_wait -1
.LBB2_1220:                             ;   in Loop: Header=BB2_1157 Depth=2
	s_wait_alu 0xfffe
	s_or_b32 exec_lo, exec_lo, s16
.LBB2_1221:                             ;   in Loop: Header=BB2_1157 Depth=2
	s_wait_alu 0xfffe
	s_or_b32 exec_lo, exec_lo, s13
	v_and_b32_e32 v8, 32, v70
	s_mov_b32 s13, exec_lo
	s_delay_alu instid0(VALU_DEP_1)
	v_cmpx_ne_u32_e32 0, v8
	s_cbranch_execz .LBB2_1156
; %bb.1222:                             ;   in Loop: Header=BB2_1157 Depth=2
	v_add_co_u32 v38, vcc_lo, v38, 2
	s_wait_alu 0xfffd
	v_add_co_ci_u32_e64 v39, null, 0, v39, vcc_lo
	global_wb scope:SCOPE_SYS
	s_wait_storecnt 0x0
	s_wait_loadcnt_dscnt 0x0
	flat_store_b64 v[20:21], v[38:39] scope:SCOPE_SYS
	s_branch .LBB2_1156
.LBB2_1223:
	s_or_b32 exec_lo, exec_lo, s77
.LBB2_1224:
	s_wait_alu 0xfffe
	s_or_b32 exec_lo, exec_lo, s57
	v_and_b32_e32 v0, 0x800, v70
	s_mov_b32 s1, exec_lo
	s_delay_alu instid0(VALU_DEP_1)
	v_cmpx_eq_u32_e32 0, v0
	s_cbranch_execz .LBB2_1257
; %bb.1225:
	v_and_b32_e32 v0, 48, v70
	s_mov_b32 s0, exec_lo
	s_delay_alu instid0(VALU_DEP_1)
	v_cmpx_ne_u32_e32 0, v0
	s_cbranch_execz .LBB2_1227
; %bb.1226:
	flat_store_b64 v[18:19], v[38:39] offset:104
.LBB2_1227:
	s_wait_alu 0xfffe
	s_or_b32 exec_lo, exec_lo, s0
	v_and_b32_e32 v0, 0x88, v70
	s_mov_b32 s2, exec_lo
	s_delay_alu instid0(VALU_DEP_1)
	v_cmpx_eq_u32_e32 0x88, v0
	s_cbranch_execz .LBB2_1237
; %bb.1228:
	v_add_nc_u32_e32 v0, 6, v38
	s_mov_b32 s3, 0
	s_delay_alu instid0(VALU_DEP_1) | instskip(NEXT) | instid1(VALU_DEP_1)
	v_and_b32_e32 v0, 7, v0
	v_mad_co_u64_u32 v[2:3], null, v0, 24, v[6:7]
	v_and_b32_e32 v0, 64, v70
	s_delay_alu instid0(VALU_DEP_1)
	v_cmp_eq_u32_e64 s0, 0, v0
	flat_load_b64 v[4:5], v[2:3] offset:8 scope:SCOPE_SYS
	s_wait_loadcnt_dscnt 0x0
	v_cmp_ne_u64_e32 vcc_lo, -1, v[4:5]
	s_and_b32 s0, vcc_lo, s0
	s_wait_alu 0xfffe
	s_and_b32 exec_lo, exec_lo, s0
	s_cbranch_execz .LBB2_1237
; %bb.1229:
	s_mov_b32 s5, 0
                                        ; implicit-def: $sgpr0
                                        ; implicit-def: $sgpr4
	s_branch .LBB2_1232
.LBB2_1230:                             ;   in Loop: Header=BB2_1232 Depth=1
	flat_load_b64 v[4:5], v[2:3] offset:8 scope:SCOPE_SYS
	s_wait_loadcnt 0x0
	s_wait_alu 0xfffe
	s_and_not1_b32 s4, s4, exec_lo
	s_wait_dscnt 0x0
	v_cmp_eq_u64_e32 vcc_lo, -1, v[4:5]
	s_or_not1_b32 s7, vcc_lo, exec_lo
.LBB2_1231:                             ;   in Loop: Header=BB2_1232 Depth=1
	s_wait_alu 0xfffe
	s_or_b32 exec_lo, exec_lo, s10
	s_delay_alu instid0(SALU_CYCLE_1)
	s_and_b32 s6, exec_lo, s7
	s_wait_alu 0xfffe
	s_or_b32 s3, s6, s3
	s_and_not1_b32 s0, s0, exec_lo
	s_and_b32 s6, s4, exec_lo
	s_wait_alu 0xfffe
	s_or_b32 s0, s0, s6
	s_and_not1_b32 exec_lo, exec_lo, s3
	s_cbranch_execz .LBB2_1235
.LBB2_1232:                             ; =>This Inner Loop Header: Depth=1
	s_wait_alu 0xfffe
	s_cmp_lt_i32 s5, 0x270f
	s_cselect_b32 s6, -1, 0
	s_wait_alu 0xfffe
	s_and_b32 vcc_lo, exec_lo, s6
	s_wait_alu 0xfffe
	s_cbranch_vccnz .LBB2_1234
; %bb.1233:                             ;   in Loop: Header=BB2_1232 Depth=1
	s_trap 2
	ds_load_b64 v[4:5], v0
	s_and_not1_b32 s6, s6, exec_lo
	s_mov_b32 s5, 0
	s_wait_storecnt_dscnt 0x0
	flat_load_b32 v0, v[4:5] scope:SCOPE_SYS
	s_wait_loadcnt_dscnt 0x0
	global_inv scope:SCOPE_SYS
	v_cmp_eq_u32_e32 vcc_lo, 0, v0
	s_and_b32 s7, vcc_lo, exec_lo
	s_wait_alu 0xfffe
	s_or_b32 s6, s6, s7
	s_mov_b32 s7, -1
	s_or_b32 s4, s4, exec_lo
	s_wait_alu 0xfffe
	s_and_saveexec_b32 s10, s6
	s_cbranch_execz .LBB2_1231
	s_branch .LBB2_1230
.LBB2_1234:                             ;   in Loop: Header=BB2_1232 Depth=1
	s_add_co_i32 s5, s5, 1
                                        ; implicit-def: $vgpr0
	s_mov_b32 s7, -1
	s_or_b32 s4, s4, exec_lo
	s_and_saveexec_b32 s10, s6
	s_cbranch_execz .LBB2_1231
	s_branch .LBB2_1230
.LBB2_1235:
	s_or_b32 exec_lo, exec_lo, s3
	s_wait_alu 0xfffe
	s_and_saveexec_b32 s3, s0
	s_wait_alu 0xfffe
	s_xor_b32 s3, exec_lo, s3
	s_cbranch_execz .LBB2_1237
; %bb.1236:
	s_wait_loadcnt 0x0
	s_wait_storecnt 0x0
	ds_store_b32 v0, v0
	s_trap 2
.LBB2_1237:
	s_wait_alu 0xfffe
	s_or_b32 exec_lo, exec_lo, s2
	v_and_b32_e32 v0, 0x2000, v70
	s_mov_b32 s0, exec_lo
	s_delay_alu instid0(VALU_DEP_1)
	v_cmpx_ne_u32_e32 0, v0
	s_cbranch_execz .LBB2_1239
; %bb.1238:
	s_trap 2
	ds_load_b64 v[2:3], v0
	s_wait_dscnt 0x0
	flat_store_b64 v[16:17], v[2:3] offset:16
.LBB2_1239:
	s_wait_alu 0xfffe
	s_or_b32 exec_lo, exec_lo, s0
	v_cmp_ne_u32_e32 vcc_lo, 32, v1
	s_and_b32 exec_lo, exec_lo, vcc_lo
	s_cbranch_execz .LBB2_1257
; %bb.1240:
	s_mov_b32 s0, exec_lo
	v_cmpx_ne_u32_e64 v1, v30
	s_wait_alu 0xfffe
	s_xor_b32 s0, exec_lo, s0
	s_cbranch_execz .LBB2_1255
; %bb.1241:
	v_and_b32_e32 v0, 31, v31
	s_mov_b32 s2, exec_lo
	s_delay_alu instid0(VALU_DEP_1)
	v_cmpx_eq_u32_e32 0, v0
	s_cbranch_execz .LBB2_1254
; %bb.1242:
	s_mov_b32 s4, exec_lo
	s_mov_b32 s3, exec_lo
	s_wait_alu 0xfffe
	v_mbcnt_lo_u32_b32 v0, s4, 0
	s_wait_storecnt 0x0
	s_wait_loadcnt_dscnt 0x0
	global_inv scope:SCOPE_DEV
	v_cmpx_eq_u32_e32 0, v0
	s_cbranch_execz .LBB2_1244
; %bb.1243:
	s_bcnt1_i32_b32 s4, s4
	s_wait_alu 0xfffe
	v_dual_mov_b32 v3, 0 :: v_dual_mov_b32 v2, s4
	s_wait_loadcnt 0x0
	ds_add_u64 v0, v[2:3]
	s_trap 2
.LBB2_1244:
	s_or_b32 exec_lo, exec_lo, s3
	s_trap 2
	ds_load_b64 v[2:3], v0
	s_wait_dscnt 0x0
	global_inv scope:SCOPE_SE
	v_lshrrev_b32_e32 v0, 5, v1
	s_mov_b32 s3, exec_lo
	s_delay_alu instid0(VALU_DEP_1) | instskip(SKIP_2) | instid1(VALU_DEP_1)
	v_add_co_u32 v0, vcc_lo, v12, v0
	s_wait_alu 0xfffd
	v_add_co_ci_u32_e64 v1, null, 0, v13, vcc_lo
	v_cmpx_lt_u64_e64 v[2:3], v[0:1]
	s_cbranch_execz .LBB2_1253
; %bb.1245:
	s_mov_b32 s4, 0
	s_mov_b32 s7, 0
                                        ; implicit-def: $sgpr5
                                        ; implicit-def: $sgpr6
	s_branch .LBB2_1247
.LBB2_1246:                             ;   in Loop: Header=BB2_1247 Depth=1
	s_wait_alu 0xfffe
	s_or_b32 exec_lo, exec_lo, s11
	s_delay_alu instid0(SALU_CYCLE_1)
	s_and_b32 s10, exec_lo, s12
	s_wait_alu 0xfffe
	s_or_b32 s4, s10, s4
	s_and_not1_b32 s5, s5, exec_lo
	s_and_b32 s10, s6, exec_lo
	s_wait_alu 0xfffe
	s_or_b32 s5, s5, s10
	s_and_not1_b32 exec_lo, exec_lo, s4
	s_cbranch_execz .LBB2_1251
.LBB2_1247:                             ; =>This Inner Loop Header: Depth=1
	s_wait_alu 0xfffe
	s_add_co_i32 s7, s7, 1
	s_wait_alu 0xfffe
	s_cmp_lg_u32 s7, 0x2710
	s_cselect_b32 s10, -1, 0
	s_wait_alu 0xfffe
	s_and_b32 vcc_lo, exec_lo, s10
	s_wait_alu 0xfffe
	s_cbranch_vccz .LBB2_1249
; %bb.1248:                             ;   in Loop: Header=BB2_1247 Depth=1
	s_mov_b32 s12, -1
	s_or_b32 s6, s6, exec_lo
	s_and_saveexec_b32 s11, s10
	s_cbranch_execz .LBB2_1246
	s_branch .LBB2_1250
.LBB2_1249:                             ;   in Loop: Header=BB2_1247 Depth=1
	s_trap 2
	ds_load_b64 v[2:3], v0
	s_and_not1_b32 s10, s10, exec_lo
	s_mov_b32 s7, 0
	s_wait_loadcnt_dscnt 0x0
	flat_load_b32 v2, v[2:3] scope:SCOPE_SYS
	s_wait_loadcnt_dscnt 0x0
	global_inv scope:SCOPE_SYS
	v_cmp_eq_u32_e32 vcc_lo, 0, v2
	s_and_b32 s11, vcc_lo, exec_lo
	s_wait_alu 0xfffe
	s_or_b32 s10, s10, s11
	s_mov_b32 s12, -1
	s_or_b32 s6, s6, exec_lo
	s_wait_alu 0xfffe
	s_and_saveexec_b32 s11, s10
	s_cbranch_execz .LBB2_1246
.LBB2_1250:                             ;   in Loop: Header=BB2_1247 Depth=1
	s_sleep 1
	s_trap 2
	ds_load_b64 v[2:3], v0
	s_wait_dscnt 0x0
	global_inv scope:SCOPE_SE
	s_wait_alu 0xfffe
	s_and_not1_b32 s6, s6, exec_lo
	v_cmp_ge_u64_e32 vcc_lo, v[2:3], v[0:1]
	s_or_not1_b32 s12, vcc_lo, exec_lo
	s_branch .LBB2_1246
.LBB2_1251:
	s_or_b32 exec_lo, exec_lo, s4
	s_wait_alu 0xfffe
	s_and_saveexec_b32 s4, s5
	s_wait_alu 0xfffe
	s_xor_b32 s4, exec_lo, s4
	s_cbranch_execz .LBB2_1253
; %bb.1252:
	v_mov_b32_e32 v0, 1
	ds_store_b32 v0, v0
	s_trap 2
.LBB2_1253:
	s_wait_alu 0xfffe
	s_or_b32 exec_lo, exec_lo, s3
	;;#ASMSTART
	s_wakeup
	;;#ASMEND
.LBB2_1254:
	s_wait_alu 0xfffe
	s_or_b32 exec_lo, exec_lo, s2
.LBB2_1255:
	s_wait_alu 0xfffe
	s_and_not1_saveexec_b32 s0, s0
	s_cbranch_execz .LBB2_1257
; %bb.1256:
	s_wait_storecnt 0x0
	s_wait_loadcnt_dscnt 0x0
	global_inv scope:SCOPE_DEV
	s_barrier_signal -1
	s_barrier_wait -1
.LBB2_1257:
	s_wait_alu 0xfffe
	s_or_b32 exec_lo, exec_lo, s1
.LBB2_1258:
	s_wait_alu 0xfffe
	s_and_not1_saveexec_b32 s21, s56
	s_cbranch_execz .LBB2_1260
; %bb.1259:
	s_getpc_b64 s[0:1]
	s_wait_alu 0xfffe
	s_sext_i32_i16 s1, s1
	s_add_co_u32 s0, s0, __PRETTY_FUNCTION__._ZN10PrimitivesI14__hip_fp8_e5m28FuncProdIS0_E12FanSymmetricILi1EELi0E11ProtoSimpleILi2ELi2ELi0ELi1ELi0ELi0EELi0ELb0ELi0ELi0ELi0EEC2EiiPKiS9_PKvPvmhhhP15ncclDevWorkCollP14ncclDevWorkP2pii@rel32@lo+12
	s_wait_alu 0xfffe
	s_add_co_ci_u32 s1, s1, __PRETTY_FUNCTION__._ZN10PrimitivesI14__hip_fp8_e5m28FuncProdIS0_E12FanSymmetricILi1EELi0E11ProtoSimpleILi2ELi2ELi0ELi1ELi0ELi0EELi0ELb0ELi0ELi0ELi0EEC2EiiPKiS9_PKvPvmhhhP15ncclDevWorkCollP14ncclDevWorkP2pii@rel32@hi+24
	s_wait_alu 0xfffe
	v_dual_mov_b32 v0, s0 :: v_dual_mov_b32 v1, s1
	s_getpc_b64 s[2:3]
	s_wait_alu 0xfffe
	s_sext_i32_i16 s3, s3
	s_add_co_u32 s2, s2, __assert_fail@rel32@lo+12
	s_wait_alu 0xfffe
	s_add_co_ci_u32 s3, s3, __assert_fail@rel32@hi+24
	s_wait_alu 0xfffe
	s_swappc_b64 s[30:31], s[2:3]
	; divergent unreachable
.LBB2_1260:
	s_wait_alu 0xfffe
	s_or_b32 exec_lo, exec_lo, s21
	s_clause 0x19
	scratch_load_b32 v89, off, s33
	scratch_load_b32 v88, off, s33 offset:4
	scratch_load_b32 v79, off, s33 offset:8
	;; [unrolled: 1-line block ×25, first 2 shown]
	v_readlane_b32 s30, v90, 0
	v_readlane_b32 s31, v90, 1
	s_mov_b32 s32, s33
	s_or_saveexec_b32 s0, -1
	scratch_load_b32 v90, off, s33 offset:104 ; 4-byte Folded Reload
	s_wait_alu 0xfffe
	s_mov_b32 exec_lo, s0
	s_mov_b32 s33, s93
	s_wait_loadcnt_dscnt 0x0
	s_wait_alu 0xfffe
	s_setpc_b64 s[30:31]
.Lfunc_end2:
	.size	_ZN12_GLOBAL__N_17runRingI14__hip_fp8_e5m28FuncProdIS1_E11ProtoSimpleILi2ELi2ELi0ELi1ELi0ELi0EELi0ELi0ELi1ELi0EEEviiP15ncclDevWorkColl, .Lfunc_end2-_ZN12_GLOBAL__N_17runRingI14__hip_fp8_e5m28FuncProdIS1_E11ProtoSimpleILi2ELi2ELi0ELi1ELi0ELi0EELi0ELi0ELi1ELi0EEEviiP15ncclDevWorkColl
                                        ; -- End function
	.set .L_ZN12_GLOBAL__N_17runRingI14__hip_fp8_e5m28FuncProdIS1_E11ProtoSimpleILi2ELi2ELi0ELi1ELi0ELi0EELi0ELi0ELi1ELi0EEEviiP15ncclDevWorkColl.num_vgpr, max(184, .L__assert_fail.num_vgpr)
	.set .L_ZN12_GLOBAL__N_17runRingI14__hip_fp8_e5m28FuncProdIS1_E11ProtoSimpleILi2ELi2ELi0ELi1ELi0ELi0EELi0ELi0ELi1ELi0EEEviiP15ncclDevWorkColl.num_agpr, max(0, .L__assert_fail.num_agpr)
	.set .L_ZN12_GLOBAL__N_17runRingI14__hip_fp8_e5m28FuncProdIS1_E11ProtoSimpleILi2ELi2ELi0ELi1ELi0ELi0EELi0ELi0ELi1ELi0EEEviiP15ncclDevWorkColl.numbered_sgpr, max(94, .L__assert_fail.numbered_sgpr)
	.set .L_ZN12_GLOBAL__N_17runRingI14__hip_fp8_e5m28FuncProdIS1_E11ProtoSimpleILi2ELi2ELi0ELi1ELi0ELi0EELi0ELi0ELi1ELi0EEEviiP15ncclDevWorkColl.num_named_barrier, max(0, .L__assert_fail.num_named_barrier)
	.set .L_ZN12_GLOBAL__N_17runRingI14__hip_fp8_e5m28FuncProdIS1_E11ProtoSimpleILi2ELi2ELi0ELi1ELi0ELi0EELi0ELi0ELi1ELi0EEEviiP15ncclDevWorkColl.private_seg_size, 112+max(.L__assert_fail.private_seg_size)
	.set .L_ZN12_GLOBAL__N_17runRingI14__hip_fp8_e5m28FuncProdIS1_E11ProtoSimpleILi2ELi2ELi0ELi1ELi0ELi0EELi0ELi0ELi1ELi0EEEviiP15ncclDevWorkColl.uses_vcc, or(1, .L__assert_fail.uses_vcc)
	.set .L_ZN12_GLOBAL__N_17runRingI14__hip_fp8_e5m28FuncProdIS1_E11ProtoSimpleILi2ELi2ELi0ELi1ELi0ELi0EELi0ELi0ELi1ELi0EEEviiP15ncclDevWorkColl.uses_flat_scratch, or(1, .L__assert_fail.uses_flat_scratch)
	.set .L_ZN12_GLOBAL__N_17runRingI14__hip_fp8_e5m28FuncProdIS1_E11ProtoSimpleILi2ELi2ELi0ELi1ELi0ELi0EELi0ELi0ELi1ELi0EEEviiP15ncclDevWorkColl.has_dyn_sized_stack, or(0, .L__assert_fail.has_dyn_sized_stack)
	.set .L_ZN12_GLOBAL__N_17runRingI14__hip_fp8_e5m28FuncProdIS1_E11ProtoSimpleILi2ELi2ELi0ELi1ELi0ELi0EELi0ELi0ELi1ELi0EEEviiP15ncclDevWorkColl.has_recursion, or(1, .L__assert_fail.has_recursion)
	.set .L_ZN12_GLOBAL__N_17runRingI14__hip_fp8_e5m28FuncProdIS1_E11ProtoSimpleILi2ELi2ELi0ELi1ELi0ELi0EELi0ELi0ELi1ELi0EEEviiP15ncclDevWorkColl.has_indirect_call, or(0, .L__assert_fail.has_indirect_call)
	.section	.AMDGPU.csdata,"",@progbits
; Function info:
; codeLenInByte = 60460
; TotalNumSgprs: 96
; NumVgprs: 184
; ScratchSize: 176
; MemoryBound: 1
	.text
	.p2align	2                               ; -- Begin function _Z51ncclDevFunc_AllReduce_RING_SIMPLE_Prod_f8e5m2_0_0_1v
	.type	_Z51ncclDevFunc_AllReduce_RING_SIMPLE_Prod_f8e5m2_0_0_1v,@function
_Z51ncclDevFunc_AllReduce_RING_SIMPLE_Prod_f8e5m2_0_0_1v: ; @_Z51ncclDevFunc_AllReduce_RING_SIMPLE_Prod_f8e5m2_0_0_1v
; %bb.0:
	s_wait_loadcnt_dscnt 0x0
	s_wait_expcnt 0x0
	s_wait_samplecnt 0x0
	s_wait_bvhcnt 0x0
	s_wait_kmcnt 0x0
	s_mov_b32 s0, s33
	s_mov_b32 s33, s32
	s_or_saveexec_b32 s1, -1
	scratch_store_b32 off, v42, s33 offset:12 ; 4-byte Folded Spill
	s_wait_alu 0xfffe
	s_mov_b32 exec_lo, s1
	v_writelane_b32 v42, s0, 4
	s_add_co_i32 s32, s32, 32
	s_clause 0x2
	scratch_store_b32 off, v40, s33 offset:8
	; meta instruction
	scratch_store_b32 off, v41, s33 offset:4
	; meta instruction
	scratch_store_b32 off, v90, s33
	v_writelane_b32 v42, s34, 0
	v_writelane_b32 v42, s35, 1
	;; [unrolled: 1-line block ×4, first 2 shown]
	s_trap 2
	ds_load_b32 v0, v0
	v_mov_b32_e32 v40, v31
	s_mov_b32 s34, s12
	s_wait_dscnt 0x0
	v_cmp_gt_i32_e32 vcc_lo, 1, v0
	s_cbranch_vccnz .LBB3_8
; %bb.1:
	v_and_b32_e32 v41, 0x3ff, v40
	s_mov_b64 s[94:95], s[8:9]
	s_mov_b32 vcc_hi, 0
	s_branch .LBB3_3
.LBB3_2:                                ;   in Loop: Header=BB3_3 Depth=1
	s_wait_alu 0xfffe
	s_or_b32 exec_lo, exec_lo, s35
	s_trap 2
	ds_load_b32 v0, v0
	s_add_co_i32 vcc_hi, vcc_hi, 1
	s_wait_dscnt 0x0
	s_wait_alu 0xfffe
	v_cmp_lt_i32_e32 vcc_lo, vcc_hi, v0
	s_cbranch_vccz .LBB3_8
.LBB3_3:                                ; =>This Inner Loop Header: Depth=1
	s_trap 2
	ds_load_b32 v0, v0
	s_wait_alu 0xfffe
	s_cmp_eq_u32 vcc_hi, 0
	s_cbranch_scc1 .LBB3_6
; %bb.4:                                ;   in Loop: Header=BB3_3 Depth=1
	s_trap 2
	s_wait_dscnt 0x0
	ds_load_b32 v1, v0
	s_wait_dscnt 0x0
	v_xor_b32_e32 v1, v1, v0
	s_delay_alu instid0(VALU_DEP_1) | instskip(NEXT) | instid1(VALU_DEP_1)
	v_and_b32_e32 v1, 0xff0000, v1
	v_cmp_eq_u32_e32 vcc_lo, 0, v1
	s_cbranch_vccnz .LBB3_6
; %bb.5:                                ;   in Loop: Header=BB3_3 Depth=1
	s_wait_storecnt 0x0
	s_barrier_signal -1
	s_barrier_wait -1
	global_inv scope:SCOPE_SE
	ds_load_b32 v0, v0
.LBB3_6:                                ;   in Loop: Header=BB3_3 Depth=1
	s_wait_dscnt 0x0
	v_lshrrev_b32_e32 v0, 11, v0
	s_mov_b32 s35, exec_lo
	s_delay_alu instid0(VALU_DEP_1) | instskip(NEXT) | instid1(VALU_DEP_1)
	v_and_b32_e32 v1, 0x1fe0, v0
	v_cmpx_lt_u32_e64 v41, v1
	s_cbranch_execz .LBB3_2
; %bb.7:                                ;   in Loop: Header=BB3_3 Depth=1
	s_mov_b64 s[0:1], src_shared_base
	v_dual_mov_b32 v31, v40 :: v_dual_mov_b32 v0, v41
	s_wait_alu 0xfffe
	v_mov_b32_e32 v3, s1
	s_getpc_b64 s[2:3]
	s_wait_alu 0xfffe
	s_sext_i32_i16 s3, s3
	s_add_co_u32 s2, s2, _ZN12_GLOBAL__N_17runRingI14__hip_fp8_e5m28FuncProdIS1_E11ProtoSimpleILi2ELi2ELi0ELi1ELi0ELi0EELi0ELi0ELi1ELi0EEEviiP15ncclDevWorkColl@rel32@lo+12
	s_wait_alu 0xfffe
	s_add_co_ci_u32 s3, s3, _ZN12_GLOBAL__N_17runRingI14__hip_fp8_e5m28FuncProdIS1_E11ProtoSimpleILi2ELi2ELi0ELi1ELi0ELi0EELi0ELi0ELi1ELi0EEEviiP15ncclDevWorkColl@rel32@hi+24
	s_mov_b64 s[8:9], s[94:95]
	s_mov_b32 s12, s34
	s_wait_alu 0xfffe
	s_swappc_b64 s[30:31], s[2:3]
	s_branch .LBB3_2
.LBB3_8:
	s_clause 0x2
	scratch_load_b32 v90, off, s33
	scratch_load_b32 v41, off, s33 offset:4
	scratch_load_b32 v40, off, s33 offset:8
	v_readlane_b32 s30, v42, 2
	v_readlane_b32 s31, v42, 3
	;; [unrolled: 1-line block ×4, first 2 shown]
	s_mov_b32 s32, s33
	v_readlane_b32 s0, v42, 4
	s_or_saveexec_b32 s1, -1
	scratch_load_b32 v42, off, s33 offset:12 ; 4-byte Folded Reload
	s_wait_alu 0xfffe
	s_mov_b32 exec_lo, s1
	s_mov_b32 s33, s0
	s_wait_loadcnt 0x0
	s_wait_alu 0xfffe
	s_setpc_b64 s[30:31]
.Lfunc_end3:
	.size	_Z51ncclDevFunc_AllReduce_RING_SIMPLE_Prod_f8e5m2_0_0_1v, .Lfunc_end3-_Z51ncclDevFunc_AllReduce_RING_SIMPLE_Prod_f8e5m2_0_0_1v
                                        ; -- End function
	.set .L_Z51ncclDevFunc_AllReduce_RING_SIMPLE_Prod_f8e5m2_0_0_1v.num_vgpr, max(91, .L_ZN12_GLOBAL__N_17runRingI14__hip_fp8_e5m28FuncProdIS1_E11ProtoSimpleILi2ELi2ELi0ELi1ELi0ELi0EELi0ELi0ELi1ELi0EEEviiP15ncclDevWorkColl.num_vgpr)
	.set .L_Z51ncclDevFunc_AllReduce_RING_SIMPLE_Prod_f8e5m2_0_0_1v.num_agpr, max(0, .L_ZN12_GLOBAL__N_17runRingI14__hip_fp8_e5m28FuncProdIS1_E11ProtoSimpleILi2ELi2ELi0ELi1ELi0ELi0EELi0ELi0ELi1ELi0EEEviiP15ncclDevWorkColl.num_agpr)
	.set .L_Z51ncclDevFunc_AllReduce_RING_SIMPLE_Prod_f8e5m2_0_0_1v.numbered_sgpr, max(96, .L_ZN12_GLOBAL__N_17runRingI14__hip_fp8_e5m28FuncProdIS1_E11ProtoSimpleILi2ELi2ELi0ELi1ELi0ELi0EELi0ELi0ELi1ELi0EEEviiP15ncclDevWorkColl.numbered_sgpr)
	.set .L_Z51ncclDevFunc_AllReduce_RING_SIMPLE_Prod_f8e5m2_0_0_1v.num_named_barrier, max(0, .L_ZN12_GLOBAL__N_17runRingI14__hip_fp8_e5m28FuncProdIS1_E11ProtoSimpleILi2ELi2ELi0ELi1ELi0ELi0EELi0ELi0ELi1ELi0EEEviiP15ncclDevWorkColl.num_named_barrier)
	.set .L_Z51ncclDevFunc_AllReduce_RING_SIMPLE_Prod_f8e5m2_0_0_1v.private_seg_size, 32+max(.L_ZN12_GLOBAL__N_17runRingI14__hip_fp8_e5m28FuncProdIS1_E11ProtoSimpleILi2ELi2ELi0ELi1ELi0ELi0EELi0ELi0ELi1ELi0EEEviiP15ncclDevWorkColl.private_seg_size)
	.set .L_Z51ncclDevFunc_AllReduce_RING_SIMPLE_Prod_f8e5m2_0_0_1v.uses_vcc, or(1, .L_ZN12_GLOBAL__N_17runRingI14__hip_fp8_e5m28FuncProdIS1_E11ProtoSimpleILi2ELi2ELi0ELi1ELi0ELi0EELi0ELi0ELi1ELi0EEEviiP15ncclDevWorkColl.uses_vcc)
	.set .L_Z51ncclDevFunc_AllReduce_RING_SIMPLE_Prod_f8e5m2_0_0_1v.uses_flat_scratch, or(1, .L_ZN12_GLOBAL__N_17runRingI14__hip_fp8_e5m28FuncProdIS1_E11ProtoSimpleILi2ELi2ELi0ELi1ELi0ELi0EELi0ELi0ELi1ELi0EEEviiP15ncclDevWorkColl.uses_flat_scratch)
	.set .L_Z51ncclDevFunc_AllReduce_RING_SIMPLE_Prod_f8e5m2_0_0_1v.has_dyn_sized_stack, or(0, .L_ZN12_GLOBAL__N_17runRingI14__hip_fp8_e5m28FuncProdIS1_E11ProtoSimpleILi2ELi2ELi0ELi1ELi0ELi0EELi0ELi0ELi1ELi0EEEviiP15ncclDevWorkColl.has_dyn_sized_stack)
	.set .L_Z51ncclDevFunc_AllReduce_RING_SIMPLE_Prod_f8e5m2_0_0_1v.has_recursion, or(1, .L_ZN12_GLOBAL__N_17runRingI14__hip_fp8_e5m28FuncProdIS1_E11ProtoSimpleILi2ELi2ELi0ELi1ELi0ELi0EELi0ELi0ELi1ELi0EEEviiP15ncclDevWorkColl.has_recursion)
	.set .L_Z51ncclDevFunc_AllReduce_RING_SIMPLE_Prod_f8e5m2_0_0_1v.has_indirect_call, or(0, .L_ZN12_GLOBAL__N_17runRingI14__hip_fp8_e5m28FuncProdIS1_E11ProtoSimpleILi2ELi2ELi0ELi1ELi0ELi0EELi0ELi0ELi1ELi0EEEviiP15ncclDevWorkColl.has_indirect_call)
	.section	.AMDGPU.csdata,"",@progbits
; Function info:
; codeLenInByte = 560
; TotalNumSgprs: 98
; NumVgprs: 184
; ScratchSize: 208
; MemoryBound: 0
	.text
	.p2align	2                               ; -- Begin function _ZN12_GLOBAL__N_17runRingI14__hip_fp8_e5m28FuncProdIS1_E11ProtoSimpleILi2ELi2ELi0ELi2ELi0ELi0EELi0ELi0ELi2ELi0EEEviiP15ncclDevWorkColl
	.type	_ZN12_GLOBAL__N_17runRingI14__hip_fp8_e5m28FuncProdIS1_E11ProtoSimpleILi2ELi2ELi0ELi2ELi0ELi0EELi0ELi0ELi2ELi0EEEviiP15ncclDevWorkColl,@function
_ZN12_GLOBAL__N_17runRingI14__hip_fp8_e5m28FuncProdIS1_E11ProtoSimpleILi2ELi2ELi0ELi2ELi0ELi0EELi0ELi0ELi2ELi0EEEviiP15ncclDevWorkColl: ; @_ZN12_GLOBAL__N_17runRingI14__hip_fp8_e5m28FuncProdIS1_E11ProtoSimpleILi2ELi2ELi0ELi2ELi0ELi0EELi0ELi0ELi2ELi0EEEviiP15ncclDevWorkColl
; %bb.0:
	s_wait_loadcnt_dscnt 0x0
	s_wait_expcnt 0x0
	s_wait_samplecnt 0x0
	s_wait_bvhcnt 0x0
	s_wait_kmcnt 0x0
	s_mov_b32 s0, s33
	s_mov_b32 s33, s32
	s_or_saveexec_b32 s1, -1
	scratch_store_b32 off, v172, s33 offset:272 ; 4-byte Folded Spill
	s_wait_alu 0xfffe
	s_mov_b32 exec_lo, s1
	v_writelane_b32 v172, s0, 10
	s_addk_co_i32 s32, 0x120
	s_clause 0x1f
	scratch_store_b32 off, v40, s33 offset:268
	; meta instruction
	scratch_store_b32 off, v41, s33 offset:264
	; meta instruction
	;; [unrolled: 2-line block ×31, first 2 shown]
	scratch_store_b32 off, v95, s33 offset:144
	s_clause 0x1f
	scratch_store_b32 off, v104, s33 offset:140
	; meta instruction
	scratch_store_b32 off, v105, s33 offset:136
	; meta instruction
	scratch_store_b32 off, v106, s33 offset:132
	; meta instruction
	scratch_store_b32 off, v107, s33 offset:128
	; meta instruction
	scratch_store_b32 off, v108, s33 offset:124
	; meta instruction
	scratch_store_b32 off, v109, s33 offset:120
	; meta instruction
	scratch_store_b32 off, v110, s33 offset:116
	; meta instruction
	scratch_store_b32 off, v111, s33 offset:112
	; meta instruction
	scratch_store_b32 off, v120, s33 offset:108
	; meta instruction
	scratch_store_b32 off, v121, s33 offset:104
	; meta instruction
	scratch_store_b32 off, v122, s33 offset:100
	; meta instruction
	scratch_store_b32 off, v123, s33 offset:96
	; meta instruction
	scratch_store_b32 off, v124, s33 offset:92
	; meta instruction
	scratch_store_b32 off, v125, s33 offset:88
	; meta instruction
	scratch_store_b32 off, v126, s33 offset:84
	; meta instruction
	scratch_store_b32 off, v127, s33 offset:80
	; meta instruction
	scratch_store_b32 off, v136, s33 offset:76
	; meta instruction
	scratch_store_b32 off, v137, s33 offset:72
	; meta instruction
	scratch_store_b32 off, v138, s33 offset:68
	; meta instruction
	scratch_store_b32 off, v139, s33 offset:64
	; meta instruction
	scratch_store_b32 off, v140, s33 offset:60
	; meta instruction
	scratch_store_b32 off, v141, s33 offset:56
	; meta instruction
	scratch_store_b32 off, v142, s33 offset:52
	; meta instruction
	scratch_store_b32 off, v143, s33 offset:48
	; meta instruction
	scratch_store_b32 off, v152, s33 offset:44
	; meta instruction
	scratch_store_b32 off, v153, s33 offset:40
	; meta instruction
	scratch_store_b32 off, v154, s33 offset:36
	; meta instruction
	scratch_store_b32 off, v155, s33 offset:32
	; meta instruction
	scratch_store_b32 off, v156, s33 offset:28
	; meta instruction
	scratch_store_b32 off, v157, s33 offset:24
	; meta instruction
	scratch_store_b32 off, v158, s33 offset:20
	; meta instruction
	scratch_store_b32 off, v159, s33 offset:16
	s_clause 0x3
	scratch_store_b32 off, v168, s33 offset:12
	; meta instruction
	scratch_store_b32 off, v169, s33 offset:8
	; meta instruction
	;; [unrolled: 2-line block ×3, first 2 shown]
	scratch_store_b32 off, v171, s33
	v_writelane_b32 v172, s34, 0
	v_writelane_b32 v172, s35, 1
	;; [unrolled: 1-line block ×10, first 2 shown]
	s_trap 2
	flat_load_b32 v7, v[2:3]
	ds_load_b32 v6, v0
	s_mov_b32 s0, exec_lo
                                        ; implicit-def: $vgpr14_vgpr15
                                        ; implicit-def: $vgpr24_vgpr25
                                        ; implicit-def: $vgpr4_vgpr5
	s_wait_dscnt 0x0
	v_readfirstlane_b32 s72, v6
	s_wait_loadcnt 0x0
	v_and_b32_e32 v8, 0xff, v7
	s_delay_alu instid0(VALU_DEP_1)
	v_cmpx_ne_u32_e64 v6, v8
	s_wait_alu 0xfffe
	s_xor_b32 s0, exec_lo, s0
	s_cbranch_execz .LBB4_6
; %bb.1:
	v_bfe_u32 v9, v7, 8, 8
	v_not_b32_e32 v8, v8
	s_mov_b32 s1, exec_lo
                                        ; implicit-def: $vgpr14_vgpr15
                                        ; implicit-def: $vgpr24_vgpr25
                                        ; implicit-def: $vgpr4_vgpr5
	s_delay_alu instid0(VALU_DEP_2)
	v_cmpx_ne_u32_e64 v6, v9
	s_wait_alu 0xfffe
	s_xor_b32 s1, exec_lo, s1
	s_cbranch_execz .LBB4_3
; %bb.2:
	s_clause 0x1
	flat_load_b128 v[9:12], v[2:3] offset:72
	flat_load_b64 v[4:5], v[2:3] offset:96
	v_add_nc_u32_e32 v6, v6, v8
                                        ; implicit-def: $vgpr8
	s_wait_loadcnt_dscnt 0x0
	v_lshrrev_b64 v[14:15], 12, v[4:5]
	v_dual_mov_b32 v4, v11 :: v_dual_mov_b32 v5, v12
	s_delay_alu instid0(VALU_DEP_3) | instskip(SKIP_2) | instid1(VALU_DEP_3)
	v_ashrrev_i32_e32 v7, 31, v6
	v_mad_co_u64_u32 v[24:25], null, v11, v6, v[9:10]
	v_mul_lo_u32 v6, v12, v6
                                        ; implicit-def: $vgpr9
	v_mul_lo_u32 v7, v11, v7
	s_delay_alu instid0(VALU_DEP_1)
	v_add3_u32 v25, v6, v25, v7
.LBB4_3:
	s_wait_alu 0xfffe
	s_and_not1_saveexec_b32 s1, s1
	s_cbranch_execz .LBB4_5
; %bb.4:
	s_clause 0x1
	flat_load_b128 v[10:13], v[2:3] offset:72
	flat_load_b128 v[4:7], v[2:3] offset:88
	s_wait_loadcnt_dscnt 0x0
	v_add_nc_u32_e32 v6, v9, v8
	s_delay_alu instid0(VALU_DEP_1) | instskip(NEXT) | instid1(VALU_DEP_1)
	v_ashrrev_i32_e32 v8, 31, v6
	v_mul_lo_u32 v8, v12, v8
	v_mad_co_u64_u32 v[24:25], null, v12, v6, v[10:11]
	v_mul_lo_u32 v6, v13, v6
	v_lshrrev_b32_e32 v14, 1, v7
	s_delay_alu instid0(VALU_DEP_2)
	v_add3_u32 v25, v6, v25, v8
.LBB4_5:
	s_wait_alu 0xfffe
	s_or_b32 exec_lo, exec_lo, s1
.LBB4_6:
	s_wait_alu 0xfffe
	s_and_not1_saveexec_b32 s0, s0
	s_cbranch_execz .LBB4_8
; %bb.7:
	s_clause 0x1
	flat_load_b64 v[6:7], v[2:3] offset:96
	flat_load_b64 v[4:5], v[2:3] offset:72
	v_mov_b32_e32 v24, 0
	v_mov_b32_e32 v25, 0
	s_wait_loadcnt_dscnt 0x101
	v_lshlrev_b64_e32 v[14:15], 9, v[6:7]
.LBB4_8:
	s_wait_alu 0xfffe
	s_or_b32 exec_lo, exec_lo, s0
	s_trap 2
	ds_load_b64 v[6:7], v0
	s_mov_b32 s1, 0
	s_mov_b32 s2, exec_lo
	s_wait_dscnt 0x0
	v_cmp_ne_u32_e32 vcc_lo, -1, v6
	s_wait_alu 0xfffd
	v_cndmask_b32_e64 v19, 0, 1, vcc_lo
	v_cmp_ne_u32_e32 vcc_lo, -1, v7
	s_wait_alu 0xfffd
	s_delay_alu instid0(VALU_DEP_2) | instskip(NEXT) | instid1(VALU_DEP_1)
	v_add_co_ci_u32_e64 v8, null, 0, v19, vcc_lo
	v_lshlrev_b32_e32 v6, 1, v8
	s_delay_alu instid0(VALU_DEP_1)
	v_cmpx_le_u32_e64 v6, v1
	s_wait_alu 0xfffe
	s_xor_b32 s78, exec_lo, s2
	s_cbranch_execz .LBB4_1254
; %bb.9:
	s_clause 0x3
	flat_load_b128 v[10:13], v[2:3] offset:16
	flat_load_b64 v[15:16], v[2:3] offset:104
	flat_load_u16 v7, v[2:3] offset:8
	flat_load_b32 v6, v[2:3] offset:4
	s_trap 2
	s_load_b32 s0, s[8:9], 0x0
	v_dual_mov_b32 v9, 0 :: v_dual_mov_b32 v30, 4
	s_wait_kmcnt 0x0
	s_cmp_lt_u32 ttmp9, s0
	s_cselect_b32 s0, 12, 18
	s_wait_alu 0xfffe
	s_add_nc_u64 s[0:1], s[8:9], s[0:1]
	global_load_u16 v20, v9, s[0:1]
	ds_load_b32 v9, v0
	s_mov_b32 s1, exec_lo
	s_wait_dscnt 0x0
	v_readfirstlane_b32 s7, v9
	v_cmpx_ge_i32_e64 v0, v19
	s_cbranch_execz .LBB4_19
; %bb.10:
	v_cmp_ge_u32_e64 s0, v0, v8
                                        ; implicit-def: $vgpr30
	s_wait_alu 0xfffe
	s_and_saveexec_b32 s2, s0
	s_wait_alu 0xfffe
	s_xor_b32 s0, exec_lo, s2
	s_cbranch_execz .LBB4_16
; %bb.11:
	v_cndmask_b32_e64 v9, 0, 1, vcc_lo
	s_mov_b32 s2, exec_lo
	s_delay_alu instid0(VALU_DEP_1) | instskip(NEXT) | instid1(VALU_DEP_1)
	v_sub_nc_u32_e32 v9, v1, v9
	v_cmpx_ge_u32_e64 v0, v9
	s_wait_alu 0xfffe
	s_xor_b32 s2, exec_lo, s2
; %bb.12:
                                        ; implicit-def: $vgpr8
; %bb.13:
	s_wait_alu 0xfffe
	s_or_saveexec_b32 s2, s2
	v_mov_b32_e32 v30, 16
	s_wait_alu 0xfffe
	s_xor_b32 exec_lo, exec_lo, s2
; %bb.14:
	v_sub_nc_u32_e32 v8, v1, v8
	s_delay_alu instid0(VALU_DEP_1)
	v_cmp_lt_i32_e32 vcc_lo, v0, v8
	s_wait_alu 0xfffd
	v_cndmask_b32_e64 v30, 32, 0, vcc_lo
; %bb.15:
	s_or_b32 exec_lo, exec_lo, s2
.LBB4_16:
	s_wait_alu 0xfffe
	s_and_not1_saveexec_b32 s0, s0
; %bb.17:
	v_mov_b32_e32 v30, 8
; %bb.18:
	s_wait_alu 0xfffe
	s_or_b32 exec_lo, exec_lo, s0
.LBB4_19:
	s_wait_alu 0xfffe
	s_or_b32 exec_lo, exec_lo, s1
	v_and_b32_e32 v8, 36, v30
	s_delay_alu instid0(VALU_DEP_1)
	v_cmp_ne_u32_e32 vcc_lo, 0, v8
	v_mov_b32_e32 v8, -1
	s_and_saveexec_b32 s0, vcc_lo
	s_cbranch_execz .LBB4_21
; %bb.20:
	s_trap 2
	ds_load_b32 v8, v0
.LBB4_21:
	s_wait_alu 0xfffe
	s_or_b32 exec_lo, exec_lo, s0
	v_and_b32_e32 v9, 24, v30
	s_mov_b32 s1, exec_lo
	s_delay_alu instid0(VALU_DEP_1)
	v_cmpx_ne_u32_e32 0, v9
	s_cbranch_execz .LBB4_23
; %bb.22:
	s_trap 2
	s_wait_dscnt 0x0
	ds_load_b32 v8, v0
.LBB4_23:
	s_wait_alu 0xfffe
	s_or_b32 exec_lo, exec_lo, s1
	s_wait_loadcnt 0x1
	v_lshrrev_b64 v[17:18], 31, v[6:7]
	v_mov_b32_e32 v28, 0
	v_dual_mov_b32 v29, 0 :: v_dual_mov_b32 v6, 0
	v_mov_b32_e32 v7, 0
                                        ; implicit-def: $vgpr26_vgpr27
                                        ; implicit-def: $vgpr100
                                        ; implicit-def: $vgpr64_vgpr65
                                        ; implicit-def: $vgpr34_vgpr35
                                        ; implicit-def: $vgpr48_vgpr49
                                        ; implicit-def: $vgpr32_vgpr33
	s_delay_alu instid0(VALU_DEP_4)
	v_and_b32_e32 v21, 3, v17
	s_and_saveexec_b32 s0, vcc_lo
	s_cbranch_execz .LBB4_33
; %bb.24:
	s_trap 2
	ds_load_b64 v[6:7], v0
	s_wait_dscnt 0x1
	v_ashrrev_i32_e32 v9, 31, v8
	s_mov_b32 s1, exec_lo
                                        ; implicit-def: $vgpr26_vgpr27
	s_delay_alu instid0(VALU_DEP_1) | instskip(SKIP_2) | instid1(VALU_DEP_2)
	v_lshlrev_b64_e32 v[17:18], 3, v[8:9]
	v_and_b32_e32 v9, 0xffff, v21
	s_wait_dscnt 0x0
	v_add_co_u32 v6, vcc_lo, v6, v17
	s_wait_alu 0xfffd
	s_delay_alu instid0(VALU_DEP_3)
	v_add_co_ci_u32_e64 v7, null, v7, v18, vcc_lo
	flat_load_b64 v[6:7], v[6:7]
	s_wait_loadcnt_dscnt 0x0
	v_mad_co_u64_u32 v[17:18], null, 0xa8, v9, v[6:7]
	flat_load_b32 v6, v[17:18] offset:640
	s_wait_loadcnt_dscnt 0x0
	v_cmpx_eq_u32_e32 1, v6
	s_cbranch_execz .LBB4_26
; %bb.25:
	flat_load_b64 v[26:27], v[17:18] offset:648
	v_or_b32_e32 v30, 0x2000, v30
	s_wait_loadcnt_dscnt 0x0
	flat_load_b64 v[6:7], v[26:27]
	s_trap 2
	s_wait_loadcnt_dscnt 0x0
	ds_store_b64 v0, v[6:7]
	flat_load_b64 v[6:7], v[26:27] offset:8
	s_wait_loadcnt_dscnt 0x0
	ds_store_b64 v0, v[6:7]
	flat_load_b64 v[6:7], v[26:27] offset:16
	s_wait_loadcnt_dscnt 0x0
	ds_store_b64 v0, v[6:7]
.LBB4_26:
	s_wait_alu 0xfffe
	s_or_b32 exec_lo, exec_lo, s1
	flat_load_b64 v[6:7], v[17:18] offset:608
	v_and_b32_e32 v9, 32, v30
	s_mov_b32 s1, exec_lo
                                        ; implicit-def: $vgpr32_vgpr33
	s_wait_loadcnt_dscnt 0x0
	v_add_co_u32 v6, vcc_lo, v6, 3
	s_wait_alu 0xfffd
	v_add_co_ci_u32_e64 v65, null, 0, v7, vcc_lo
	s_delay_alu instid0(VALU_DEP_2)
	v_and_b32_e32 v64, -4, v6
	v_cmpx_ne_u32_e32 0, v9
	s_cbranch_execz .LBB4_28
; %bb.27:
	flat_load_b64 v[32:33], v[17:18] offset:560
	global_wb scope:SCOPE_SYS
	s_wait_storecnt 0x0
	s_wait_loadcnt_dscnt 0x0
	flat_store_b64 v[32:33], v[64:65] scope:SCOPE_SYS
.LBB4_28:
	s_wait_alu 0xfffe
	s_or_b32 exec_lo, exec_lo, s1
	v_add_co_u32 v28, vcc_lo, 0x1f8, v17
	v_dual_mov_b32 v6, 0 :: v_dual_and_b32 v9, 4, v30
	s_wait_alu 0xfffd
	v_add_co_ci_u32_e64 v29, null, 0, v18, vcc_lo
	v_mov_b32_e32 v7, 0
	s_mov_b32 s1, exec_lo
                                        ; implicit-def: $vgpr100
                                        ; implicit-def: $vgpr34_vgpr35
                                        ; implicit-def: $vgpr48_vgpr49
	v_cmpx_ne_u32_e32 0, v9
	s_cbranch_execz .LBB4_32
; %bb.29:
	v_and_b32_e32 v6, 0x800, v30
	s_mov_b32 s2, exec_lo
	s_delay_alu instid0(VALU_DEP_1)
	v_cmpx_eq_u32_e32 0, v6
	s_cbranch_execz .LBB4_31
; %bb.30:
	s_trap 2
	ds_store_b64 v0, v[28:29]
.LBB4_31:
	s_wait_alu 0xfffe
	s_or_b32 exec_lo, exec_lo, s2
	flat_load_b64 v[32:33], v[17:18] offset:552
	v_or_b32_e32 v9, 0x100, v30
	s_wait_loadcnt_dscnt 0x0
	flat_load_b64 v[48:49], v[32:33] scope:SCOPE_SYS
	s_wait_loadcnt_dscnt 0x0
	global_inv scope:SCOPE_SYS
	s_clause 0x2
	flat_load_b64 v[6:7], v[17:18] offset:600
	flat_load_b32 v100, v[17:18] offset:576
	flat_load_b64 v[34:35], v[17:18] offset:520
	s_wait_loadcnt_dscnt 0x202
	v_cmp_eq_u64_e32 vcc_lo, 0, v[6:7]
	s_wait_alu 0xfffd
	v_cndmask_b32_e32 v30, v9, v30, vcc_lo
.LBB4_32:
	s_wait_alu 0xfffe
	s_or_b32 exec_lo, exec_lo, s1
.LBB4_33:
	s_wait_alu 0xfffe
	s_or_b32 exec_lo, exec_lo, s0
	v_and_b32_e32 v9, 24, v30
	s_mov_b32 s0, exec_lo
                                        ; implicit-def: $vgpr36_vgpr37
	s_delay_alu instid0(VALU_DEP_1)
	v_cmpx_ne_u32_e32 0, v9
	s_cbranch_execz .LBB4_41
; %bb.34:
	s_trap 2
	ds_load_b64 v[6:7], v0
	s_wait_dscnt 0x1
	v_ashrrev_i32_e32 v9, 31, v8
	v_or_b32_e32 v17, 0x100, v30
	s_mov_b32 s1, exec_lo
                                        ; implicit-def: $vgpr36_vgpr37
	s_delay_alu instid0(VALU_DEP_2) | instskip(SKIP_1) | instid1(VALU_DEP_1)
	v_lshlrev_b64_e32 v[8:9], 3, v[8:9]
	s_wait_dscnt 0x0
	v_add_co_u32 v6, vcc_lo, v6, v8
	s_wait_alu 0xfffd
	s_delay_alu instid0(VALU_DEP_2)
	v_add_co_ci_u32_e64 v7, null, v7, v9, vcc_lo
	v_and_b32_e32 v8, 0xffff, v21
	flat_load_b64 v[6:7], v[6:7]
	s_wait_loadcnt_dscnt 0x0
	v_mad_co_u64_u32 v[28:29], null, 0xa8, v8, v[6:7]
	flat_load_b128 v[6:9], v[28:29] offset:96
	s_wait_loadcnt_dscnt 0x0
	v_cmp_eq_u64_e32 vcc_lo, 0, v[6:7]
	s_wait_alu 0xfffd
	v_cndmask_b32_e32 v30, v17, v30, vcc_lo
	s_delay_alu instid0(VALU_DEP_1) | instskip(NEXT) | instid1(VALU_DEP_1)
	v_and_b32_e32 v17, 16, v30
	v_cmpx_ne_u32_e32 0, v17
	s_cbranch_execz .LBB4_36
; %bb.35:
	s_clause 0x2
	flat_load_b64 v[32:33], v[28:29] offset:48
	flat_load_b64 v[36:37], v[28:29] offset:120
	flat_load_b64 v[34:35], v[28:29] offset:16
.LBB4_36:
	s_wait_alu 0xfffe
	s_or_b32 exec_lo, exec_lo, s1
	v_add_co_u32 v8, vcc_lo, v8, 3
	v_and_b32_e32 v17, 8, v30
	s_wait_alu 0xfffd
	v_add_co_ci_u32_e64 v65, null, 0, v9, vcc_lo
	s_delay_alu instid0(VALU_DEP_3)
	v_and_b32_e32 v64, -4, v8
	s_mov_b32 s1, exec_lo
	v_cmpx_ne_u32_e32 0, v17
	s_cbranch_execz .LBB4_40
; %bb.37:
	v_and_b32_e32 v8, 0x800, v30
	s_mov_b32 s2, exec_lo
	s_delay_alu instid0(VALU_DEP_1)
	v_cmpx_eq_u32_e32 0, v8
	s_cbranch_execz .LBB4_39
; %bb.38:
	s_trap 2
	ds_store_b64 v0, v[28:29]
.LBB4_39:
	s_wait_alu 0xfffe
	s_or_b32 exec_lo, exec_lo, s2
	s_wait_loadcnt_dscnt 0x202
	flat_load_b64 v[32:33], v[28:29] offset:56
	s_wait_loadcnt_dscnt 0x0
	flat_load_b64 v[48:49], v[32:33] scope:SCOPE_SYS
	s_wait_loadcnt_dscnt 0x0
	global_inv scope:SCOPE_SYS
	s_clause 0x1
	flat_load_b32 v100, v[28:29] offset:72
	flat_load_b64 v[34:35], v[28:29] offset:16
.LBB4_40:
	s_wait_alu 0xfffe
	s_or_b32 exec_lo, exec_lo, s1
.LBB4_41:
	s_wait_alu 0xfffe
	s_or_b32 exec_lo, exec_lo, s0
	v_cmp_eq_u32_e64 s0, 0, v0
	s_and_saveexec_b32 s1, s0
	s_cbranch_execz .LBB4_43
; %bb.42:
	s_wait_dscnt 0x0
	flat_load_b64 v[8:9], v[2:3] offset:32
	ds_store_2addr_b64 v0, v[12:13], v[10:11] offset1:1
	s_trap 2
	s_wait_loadcnt_dscnt 0x1
	ds_store_b64 v0, v[8:9]
	ds_store_b64 v0, v[15:16]
.LBB4_43:
	s_wait_alu 0xfffe
	s_or_b32 exec_lo, exec_lo, s1
	s_wait_loadcnt 0x0
	v_dual_mov_b32 v38, 0 :: v_dual_and_b32 v101, 0xffff, v20
	v_mov_b32_e32 v39, 0
	s_mov_b32 s79, exec_lo
	v_cmpx_lt_i64_e32 0, v[4:5]
	s_cbranch_execz .LBB4_1220
; %bb.44:
	flat_load_b32 v3, v[2:3] offset:4
	s_ashr_i32 s73, s72, 31
	s_add_co_i32 s88, s72, s72
	s_not_b32 s6, s72
	s_wait_dscnt 0x1
	v_dual_mov_b32 v115, 0x88 :: v_dual_and_b32 v8, 31, v31
	v_ashrrev_i32_e32 v9, 31, v0
	s_cmp_gt_i32 s72, 0
	v_lshrrev_b32_e32 v103, 5, v1
	s_wait_alu 0xfffe
	s_cselect_b32 s6, s6, -1
	v_and_b32_e32 v112, 0x1fe0, v1
	s_wait_alu 0xfffe
	s_add_co_i32 s90, s6, s88
	v_cmp_eq_u32_e64 s6, 0, v8
	v_lshrrev_b32_e32 v8, 27, v9
	v_dual_mov_b32 v114, 0x90 :: v_dual_lshlrev_b32 v117, 9, v103
	s_ashr_i32 s10, s7, 31
	v_and_b32_e32 v54, 0x3ffffe00, v14
	s_delay_alu instid0(VALU_DEP_3)
	v_add_nc_u32_e32 v8, v0, v8
	v_mov_b32_e32 v38, 0
	v_mov_b32_e32 v39, 0
	s_wait_alu 0xfffe
	s_lshr_b32 s10, s10, 25
	v_subrev_nc_u32_e32 v119, 32, v112
	v_and_b32_e32 v9, 0xffffffe0, v8
	v_ashrrev_i32_e32 v130, 5, v8
	s_wait_alu 0xfffe
	s_add_co_i32 s7, s7, s10
	v_add_nc_u32_e32 v128, 0xfffffe00, v117
	s_ashr_i32 s91, s90, 31
	v_sub_nc_u32_e32 v132, v0, v9
	v_lshlrev_b32_e32 v8, 11, v130
	v_lshlrev_b32_e32 v9, 10, v130
	s_wait_alu 0xfffe
	s_ashr_i32 s92, s7, 7
	s_cmp_gt_i32 s72, 2
	v_ashrrev_i32_e32 v129, 31, v119
	v_lshl_add_u32 v135, v132, 4, v8
	v_dual_mov_b32 v2, 0 :: v_dual_mov_b32 v113, 1
	s_cselect_b32 s93, -1, 0
	s_add_co_i32 s13, s72, 1
	v_ashrrev_i32_e32 v131, 31, v128
	v_sub_nc_u32_e32 v146, v135, v9
	v_dual_mov_b32 v50, 0 :: v_dual_mov_b32 v55, v2
	v_add_co_u32 v133, s7, v119, 32
	v_mov_b32_e32 v51, 0
	v_mad_co_i64_i32 v[52:53], null, v54, s72, 0
	v_cmp_ge_i32_e32 vcc_lo, v0, v1
	s_wait_alu 0xf1ff
	v_add_co_ci_u32_e64 v134, null, 0, v129, s7
	v_add_co_u32 v144, s7, 0x200, v128
	v_cmp_eq_u64_e64 s4, 0, v[36:37]
	v_cmp_ne_u64_e64 s5, 0, v[36:37]
	v_ashrrev_i32_e32 v102, 31, v100
	v_cmp_eq_u32_e64 s1, 32, v1
	v_cmp_ne_u32_e64 s2, 32, v1
	v_cmp_ne_u32_e64 s3, v1, v101
	v_lshlrev_b32_e32 v116, 11, v103
	v_lshlrev_b32_e32 v118, 10, v103
	s_wait_alu 0xf1ff
	v_add_co_ci_u32_e64 v145, null, 0, v131, s7
	v_cmp_gt_i32_e64 s7, 1, v132
	v_cmp_lt_i32_e64 s11, v132, v19
	v_cmp_le_i32_e64 s12, v132, v19
	v_ashrrev_i32_e32 v147, 31, v135
	v_ashrrev_i32_e32 v148, 31, v146
	s_mov_b32 s63, 0
	s_mov_b32 s89, 0x47600000
	s_add_nc_u64 s[74:75], s[72:73], -1
	s_mov_b32 s34, 0
	s_trap 2
	s_wait_loadcnt_dscnt 0x0
	v_and_b32_e32 v3, 1, v3
	s_delay_alu instid0(VALU_DEP_1)
	v_cmp_eq_u32_e64 s10, 1, v3
	s_xor_b32 s94, s10, -1
	s_wait_alu 0xfffe
	s_cmp_ge_i32 s13, s72
	s_cselect_b32 s14, s72, 0
	s_add_co_i32 s95, s72, -2
	s_wait_alu 0xfffe
	s_sub_co_i32 s30, s13, s14
	s_xor_b32 vcc_hi, vcc_lo, -1
	s_ashr_i32 s76, s73, 31
	s_sub_co_i32 s31, 0, s72
	s_wait_alu 0xfffe
	s_ashr_i32 s35, s30, 31
	s_branch .LBB4_47
.LBB4_45:                               ;   in Loop: Header=BB4_47 Depth=1
	s_or_b32 exec_lo, exec_lo, s15
.LBB4_46:                               ;   in Loop: Header=BB4_47 Depth=1
	s_wait_alu 0xfffe
	s_or_b32 exec_lo, exec_lo, s14
	v_add_co_u32 v50, vcc_lo, v50, v52
	s_wait_alu 0xfffd
	v_add_co_ci_u32_e64 v51, null, v51, v53, vcc_lo
	s_delay_alu instid0(VALU_DEP_1)
	v_cmp_ge_i64_e32 vcc_lo, v[50:51], v[4:5]
	s_or_b32 s34, vcc_lo, s34
	s_wait_alu 0xfffe
	s_and_not1_b32 exec_lo, exec_lo, s34
	s_cbranch_execz .LBB4_1219
.LBB4_47:                               ; =>This Loop Header: Depth=1
                                        ;     Child Loop BB4_57 Depth 2
                                        ;       Child Loop BB4_65 Depth 3
                                        ;       Child Loop BB4_89 Depth 3
                                        ;       Child Loop BB4_108 Depth 3
                                        ;       Child Loop BB4_134 Depth 3
                                        ;       Child Loop BB4_139 Depth 3
                                        ;       Child Loop BB4_147 Depth 3
                                        ;       Child Loop BB4_152 Depth 3
                                        ;       Child Loop BB4_161 Depth 3
                                        ;       Child Loop BB4_180 Depth 3
                                        ;     Child Loop BB4_199 Depth 2
                                        ;       Child Loop BB4_205 Depth 3
                                        ;       Child Loop BB4_229 Depth 3
                                        ;       Child Loop BB4_252 Depth 3
                                        ;     Child Loop BB4_271 Depth 2
                                        ;       Child Loop BB4_274 Depth 3
                                        ;         Child Loop BB4_282 Depth 4
                                        ;         Child Loop BB4_310 Depth 4
	;; [unrolled: 1-line block ×9, first 2 shown]
                                        ;       Child Loop BB4_420 Depth 3
                                        ;         Child Loop BB4_426 Depth 4
                                        ;         Child Loop BB4_454 Depth 4
	;; [unrolled: 1-line block ×3, first 2 shown]
                                        ;     Child Loop BB4_495 Depth 2
                                        ;       Child Loop BB4_503 Depth 3
                                        ;       Child Loop BB4_531 Depth 3
	;; [unrolled: 1-line block ×5, first 2 shown]
                                        ;         Child Loop BB4_583 Depth 4
                                        ;       Child Loop BB4_592 Depth 3
                                        ;       Child Loop BB4_597 Depth 3
                                        ;         Child Loop BB4_598 Depth 4
                                        ;       Child Loop BB4_610 Depth 3
                                        ;       Child Loop BB4_615 Depth 3
	;; [unrolled: 1-line block ×6, first 2 shown]
                                        ;     Child Loop BB4_676 Depth 2
                                        ;       Child Loop BB4_682 Depth 3
                                        ;       Child Loop BB4_710 Depth 3
	;; [unrolled: 1-line block ×3, first 2 shown]
                                        ;     Child Loop BB4_751 Depth 2
                                        ;       Child Loop BB4_754 Depth 3
                                        ;         Child Loop BB4_762 Depth 4
                                        ;         Child Loop BB4_790 Depth 4
	;; [unrolled: 1-line block ×5, first 2 shown]
                                        ;           Child Loop BB4_842 Depth 5
                                        ;         Child Loop BB4_851 Depth 4
                                        ;         Child Loop BB4_856 Depth 4
                                        ;           Child Loop BB4_857 Depth 5
                                        ;         Child Loop BB4_869 Depth 4
                                        ;         Child Loop BB4_874 Depth 4
	;; [unrolled: 1-line block ×6, first 2 shown]
                                        ;       Child Loop BB4_935 Depth 3
                                        ;         Child Loop BB4_941 Depth 4
                                        ;         Child Loop BB4_969 Depth 4
	;; [unrolled: 1-line block ×3, first 2 shown]
                                        ;     Child Loop BB4_1013 Depth 2
                                        ;       Child Loop BB4_1021 Depth 3
                                        ;       Child Loop BB4_1045 Depth 3
	;; [unrolled: 1-line block ×9, first 2 shown]
                                        ;     Child Loop BB4_1153 Depth 2
                                        ;       Child Loop BB4_1159 Depth 3
                                        ;       Child Loop BB4_1183 Depth 3
	;; [unrolled: 1-line block ×3, first 2 shown]
	v_sub_co_u32 v66, vcc_lo, v4, v50
	s_wait_alu 0xfffd
	v_sub_co_ci_u32_e64 v67, null, v5, v51, vcc_lo
	s_mov_b32 s16, exec_lo
	v_cmpx_lt_i64_e64 v[66:67], v[52:53]
	s_cbranch_execz .LBB4_53
; %bb.48:                               ;   in Loop: Header=BB4_47 Depth=1
	v_add_co_u32 v10, vcc_lo, s74, v66
	s_wait_alu 0xfffd
	v_add_co_ci_u32_e64 v11, null, s75, v67, vcc_lo
                                        ; implicit-def: $vgpr8_vgpr9
	s_mov_b32 s13, exec_lo
	v_or_b32_e32 v3, s73, v11
	s_delay_alu instid0(VALU_DEP_1)
	v_cmpx_ne_u64_e32 0, v[2:3]
	s_wait_alu 0xfffe
	s_xor_b32 s17, exec_lo, s13
	s_cbranch_execz .LBB4_50
; %bb.49:                               ;   in Loop: Header=BB4_47 Depth=1
	s_mov_b32 s77, s76
	v_ashrrev_i32_e32 v3, 31, v11
	s_wait_alu 0xfffe
	s_add_nc_u64 s[14:15], s[72:73], s[76:77]
	s_wait_alu 0xfffe
	s_xor_b64 s[14:15], s[14:15], s[76:77]
	v_add_co_u32 v8, vcc_lo, v10, v3
	s_wait_alu 0xfffe
	s_cvt_f32_u32 s13, s14
	s_cvt_f32_u32 s18, s15
	s_sub_nc_u64 s[20:21], 0, s[14:15]
	s_wait_alu 0xfffd
	v_add_co_ci_u32_e64 v9, null, v11, v3, vcc_lo
	s_wait_alu 0xfffe
	s_fmamk_f32 s13, s18, 0x4f800000, s13
	v_xor_b32_e32 v14, v8, v3
	s_delay_alu instid0(VALU_DEP_2) | instskip(SKIP_3) | instid1(TRANS32_DEP_1)
	v_xor_b32_e32 v15, v9, v3
	s_wait_alu 0xfffe
	v_s_rcp_f32 s13, s13
	v_xor_b32_e32 v3, s76, v3
	s_mul_f32 s13, s13, 0x5f7ffffc
	s_wait_alu 0xfffe
	s_delay_alu instid0(SALU_CYCLE_2) | instskip(SKIP_1) | instid1(SALU_CYCLE_2)
	s_mul_f32 s18, s13, 0x2f800000
	s_wait_alu 0xfffe
	s_trunc_f32 s18, s18
	s_wait_alu 0xfffe
	s_delay_alu instid0(SALU_CYCLE_2) | instskip(SKIP_2) | instid1(SALU_CYCLE_1)
	s_fmamk_f32 s13, s18, 0xcf800000, s13
	s_cvt_u32_f32 s19, s18
	s_wait_alu 0xfffe
	s_cvt_u32_f32 s18, s13
	s_wait_alu 0xfffe
	s_delay_alu instid0(SALU_CYCLE_2)
	s_mul_u64 s[22:23], s[20:21], s[18:19]
	s_wait_alu 0xfffe
	s_mul_hi_u32 s25, s18, s23
	s_mul_i32 s24, s18, s23
	s_mul_hi_u32 s62, s18, s22
	s_mul_i32 s26, s19, s22
	s_wait_alu 0xfffe
	s_add_nc_u64 s[24:25], s[62:63], s[24:25]
	s_mul_hi_u32 s13, s19, s22
	s_mul_hi_u32 s27, s19, s23
	s_mul_i32 s22, s19, s23
	s_wait_alu 0xfffe
	s_add_co_u32 s23, s24, s26
	s_add_co_ci_u32 s62, s25, s13
	s_add_co_ci_u32 s23, s27, 0
	s_wait_alu 0xfffe
	s_add_nc_u64 s[22:23], s[62:63], s[22:23]
	s_wait_alu 0xfffe
	s_add_co_u32 s18, s18, s22
	s_cselect_b32 s13, -1, 0
	s_wait_alu 0xfffe
	s_cmp_lg_u32 s13, 0
	s_add_co_ci_u32 s19, s19, s23
	s_wait_alu 0xfffe
	s_mul_u64 s[20:21], s[20:21], s[18:19]
	s_wait_alu 0xfffe
	s_mul_hi_u32 s23, s18, s21
	s_mul_i32 s22, s18, s21
	s_mul_hi_u32 s62, s18, s20
	s_mul_i32 s24, s19, s20
	s_wait_alu 0xfffe
	s_add_nc_u64 s[22:23], s[62:63], s[22:23]
	s_mul_hi_u32 s13, s19, s20
	s_mul_hi_u32 s25, s19, s21
	s_mul_i32 s20, s19, s21
	s_wait_alu 0xfffe
	s_add_co_u32 s21, s22, s24
	s_add_co_ci_u32 s62, s23, s13
	s_add_co_ci_u32 s21, s25, 0
	s_wait_alu 0xfffe
	s_add_nc_u64 s[20:21], s[62:63], s[20:21]
	s_wait_alu 0xfffe
	s_add_co_u32 s13, s18, s20
	s_cselect_b32 s18, -1, 0
	s_wait_alu 0xfffe
	v_mul_hi_u32 v16, v14, s13
	s_cmp_lg_u32 s18, 0
	v_mad_co_u64_u32 v[10:11], null, v15, s13, 0
	s_add_co_ci_u32 s18, s19, s21
	s_wait_alu 0xfffe
	v_mad_co_u64_u32 v[8:9], null, v14, s18, 0
	v_mad_co_u64_u32 v[12:13], null, v15, s18, 0
	s_delay_alu instid0(VALU_DEP_2) | instskip(SKIP_1) | instid1(VALU_DEP_3)
	v_add_co_u32 v8, vcc_lo, v16, v8
	s_wait_alu 0xfffd
	v_add_co_ci_u32_e64 v9, null, 0, v9, vcc_lo
	s_delay_alu instid0(VALU_DEP_2) | instskip(SKIP_1) | instid1(VALU_DEP_2)
	v_add_co_u32 v8, vcc_lo, v8, v10
	s_wait_alu 0xfffd
	v_add_co_ci_u32_e32 v8, vcc_lo, v9, v11, vcc_lo
	s_wait_alu 0xfffd
	v_add_co_ci_u32_e32 v9, vcc_lo, 0, v13, vcc_lo
	s_delay_alu instid0(VALU_DEP_2) | instskip(SKIP_1) | instid1(VALU_DEP_2)
	v_add_co_u32 v10, vcc_lo, v8, v12
	s_wait_alu 0xfffd
	v_add_co_ci_u32_e64 v11, null, 0, v9, vcc_lo
	s_delay_alu instid0(VALU_DEP_2) | instskip(SKIP_1) | instid1(VALU_DEP_3)
	v_mul_lo_u32 v12, s15, v10
	v_mad_co_u64_u32 v[8:9], null, s14, v10, 0
	v_mul_lo_u32 v13, s14, v11
	s_delay_alu instid0(VALU_DEP_2) | instskip(NEXT) | instid1(VALU_DEP_2)
	v_sub_co_u32 v8, vcc_lo, v14, v8
	v_add3_u32 v9, v9, v13, v12
	v_add_co_u32 v13, s13, v10, 2
	s_wait_alu 0xf1ff
	v_add_co_ci_u32_e64 v14, null, 0, v11, s13
	s_delay_alu instid0(VALU_DEP_3) | instskip(SKIP_3) | instid1(VALU_DEP_3)
	v_sub_nc_u32_e32 v12, v15, v9
	v_sub_co_u32 v16, s13, v8, s14
	s_wait_alu 0xfffd
	v_sub_co_ci_u32_e64 v9, null, v15, v9, vcc_lo
	v_subrev_co_ci_u32_e64 v12, null, s15, v12, vcc_lo
	s_delay_alu instid0(VALU_DEP_3) | instskip(SKIP_1) | instid1(VALU_DEP_2)
	v_cmp_le_u32_e32 vcc_lo, s14, v16
	s_wait_alu 0xf1ff
	v_subrev_co_ci_u32_e64 v12, null, 0, v12, s13
	s_wait_alu 0xfffd
	v_cndmask_b32_e64 v15, 0, -1, vcc_lo
	s_delay_alu instid0(VALU_DEP_2)
	v_cmp_le_u32_e32 vcc_lo, s15, v12
	s_wait_alu 0xfffd
	v_cndmask_b32_e64 v16, 0, -1, vcc_lo
	v_cmp_le_u32_e32 vcc_lo, s14, v8
	s_wait_alu 0xfffd
	v_cndmask_b32_e64 v8, 0, -1, vcc_lo
	;; [unrolled: 3-line block ×3, first 2 shown]
	v_cmp_eq_u32_e32 vcc_lo, s15, v12
	s_wait_alu 0xfffd
	v_cndmask_b32_e32 v12, v16, v15, vcc_lo
	v_add_co_u32 v15, vcc_lo, v10, 1
	s_wait_alu 0xfffd
	v_add_co_ci_u32_e64 v16, null, 0, v11, vcc_lo
	v_cmp_eq_u32_e32 vcc_lo, s15, v9
	s_wait_alu 0xfffd
	v_cndmask_b32_e32 v8, v17, v8, vcc_lo
	v_cmp_ne_u32_e32 vcc_lo, 0, v12
	s_wait_alu 0xfffd
	v_cndmask_b32_e32 v9, v16, v14, vcc_lo
	s_delay_alu instid0(VALU_DEP_3) | instskip(SKIP_2) | instid1(VALU_DEP_2)
	v_cmp_ne_u32_e64 s13, 0, v8
	v_cndmask_b32_e32 v8, v15, v13, vcc_lo
	s_wait_alu 0xf1ff
	v_cndmask_b32_e64 v9, v11, v9, s13
	s_delay_alu instid0(VALU_DEP_2) | instskip(NEXT) | instid1(VALU_DEP_2)
	v_cndmask_b32_e64 v8, v10, v8, s13
                                        ; implicit-def: $vgpr10
	v_xor_b32_e32 v9, v9, v3
	s_delay_alu instid0(VALU_DEP_2) | instskip(NEXT) | instid1(VALU_DEP_1)
	v_xor_b32_e32 v8, v8, v3
	v_sub_co_u32 v8, vcc_lo, v8, v3
	s_wait_alu 0xfffd
	s_delay_alu instid0(VALU_DEP_3)
	v_sub_co_ci_u32_e64 v9, null, v9, v3, vcc_lo
.LBB4_50:                               ;   in Loop: Header=BB4_47 Depth=1
	s_wait_alu 0xfffe
	s_and_not1_saveexec_b32 s13, s17
	s_cbranch_execz .LBB4_52
; %bb.51:                               ;   in Loop: Header=BB4_47 Depth=1
	v_cvt_f32_u32_e32 v3, s72
	s_delay_alu instid0(VALU_DEP_1) | instskip(NEXT) | instid1(TRANS32_DEP_1)
	v_rcp_iflag_f32_e32 v3, v3
	v_mul_f32_e32 v3, 0x4f7ffffe, v3
	s_delay_alu instid0(VALU_DEP_1) | instskip(NEXT) | instid1(VALU_DEP_1)
	v_cvt_u32_f32_e32 v3, v3
	v_mul_lo_u32 v8, s31, v3
	s_delay_alu instid0(VALU_DEP_1) | instskip(NEXT) | instid1(VALU_DEP_1)
	v_mul_hi_u32 v8, v3, v8
	v_add_nc_u32_e32 v3, v3, v8
	s_delay_alu instid0(VALU_DEP_1) | instskip(NEXT) | instid1(VALU_DEP_1)
	v_mul_hi_u32 v3, v10, v3
	v_mul_lo_u32 v8, v3, s72
	v_add_nc_u32_e32 v9, 1, v3
	s_delay_alu instid0(VALU_DEP_2) | instskip(NEXT) | instid1(VALU_DEP_1)
	v_sub_nc_u32_e32 v8, v10, v8
	v_subrev_nc_u32_e32 v10, s72, v8
	v_cmp_le_u32_e32 vcc_lo, s72, v8
	s_wait_alu 0xfffd
	s_delay_alu instid0(VALU_DEP_2) | instskip(NEXT) | instid1(VALU_DEP_1)
	v_dual_cndmask_b32 v8, v8, v10 :: v_dual_cndmask_b32 v3, v3, v9
	v_cmp_le_u32_e32 vcc_lo, s72, v8
	s_delay_alu instid0(VALU_DEP_2) | instskip(SKIP_1) | instid1(VALU_DEP_1)
	v_add_nc_u32_e32 v9, 1, v3
	s_wait_alu 0xfffd
	v_dual_cndmask_b32 v8, v3, v9 :: v_dual_mov_b32 v9, v2
.LBB4_52:                               ;   in Loop: Header=BB4_47 Depth=1
	s_wait_alu 0xfffe
	s_or_b32 exec_lo, exec_lo, s13
	s_delay_alu instid0(VALU_DEP_1) | instskip(SKIP_2) | instid1(VALU_DEP_2)
	v_add_co_u32 v3, vcc_lo, v8, 15
	s_wait_alu 0xfffd
	v_add_co_ci_u32_e64 v55, null, 0, v9, vcc_lo
	v_and_b32_e32 v54, -16, v3
.LBB4_53:                               ;   in Loop: Header=BB4_47 Depth=1
	s_wait_alu 0xfffe
	s_or_b32 exec_lo, exec_lo, s16
	s_delay_alu instid0(VALU_DEP_2) | instskip(NEXT) | instid1(VALU_DEP_2)
	v_mul_lo_u32 v3, v55, s90
	v_mul_lo_u32 v8, v54, s91
	v_mad_co_u64_u32 v[10:11], null, v54, s90, 0
	v_mov_b32_e32 v21, 0
	s_delay_alu instid0(VALU_DEP_2) | instskip(NEXT) | instid1(VALU_DEP_3)
	v_add3_u32 v11, v11, v8, v3
	v_sub_co_u32 v8, vcc_lo, v66, v10
	s_wait_alu 0xfffd
	s_delay_alu instid0(VALU_DEP_2) | instskip(NEXT) | instid1(VALU_DEP_1)
	v_sub_co_ci_u32_e64 v9, null, v67, v11, vcc_lo
	v_cmp_lt_i64_e32 vcc_lo, v[54:55], v[8:9]
	s_wait_alu 0xfffd
	v_cndmask_b32_e32 v8, v8, v54, vcc_lo
	v_add_co_u32 v149, vcc_lo, v50, v24
	s_wait_alu 0xfffd
	v_add_co_ci_u32_e64 v150, null, v51, v25, vcc_lo
	s_delay_alu instid0(VALU_DEP_3) | instskip(NEXT) | instid1(VALU_DEP_1)
	v_max_i32_e32 v20, 0, v8
	v_add_nc_u32_e32 v3, 31, v20
	v_cmp_lt_i32_e32 vcc_lo, 0, v8
	s_delay_alu instid0(VALU_DEP_2) | instskip(SKIP_1) | instid1(VALU_DEP_1)
	v_lshrrev_b32_e32 v3, 1, v3
	s_and_b32 s13, vcc_hi, vcc_lo
	v_and_b32_e32 v9, 0x3ffffff0, v3
	v_mov_b32_e32 v3, 0
	s_delay_alu instid0(VALU_DEP_2)
	v_max_i32_e32 v8, s92, v9
	s_wait_alu 0xfffe
	s_and_saveexec_b32 s15, s13
	s_cbranch_execz .LBB4_195
; %bb.54:                               ;   in Loop: Header=BB4_47 Depth=1
	v_mov_b32_e32 v21, 0
	s_mov_b32 s18, 1
	s_mov_b32 s17, -1
	s_mov_b32 s16, 0
	s_branch .LBB4_57
.LBB4_55:                               ;   in Loop: Header=BB4_57 Depth=2
	s_wait_alu 0xfffe
	s_or_b32 exec_lo, exec_lo, s14
	v_add_co_u32 v64, vcc_lo, v64, 2
	s_wait_alu 0xfffd
	v_add_co_ci_u32_e64 v65, null, 0, v65, vcc_lo
	global_wb scope:SCOPE_SYS
	s_wait_storecnt 0x0
	s_wait_loadcnt_dscnt 0x0
	flat_store_b64 v[32:33], v[64:65] scope:SCOPE_SYS
.LBB4_56:                               ;   in Loop: Header=BB4_57 Depth=2
	s_wait_alu 0xfffe
	s_or_b32 exec_lo, exec_lo, s13
	v_add_nc_u32_e32 v21, v8, v21
	s_xor_b32 s13, s17, -1
	v_mov_b32_e32 v3, s18
	s_mov_b32 s17, 0
	s_mov_b32 s18, 2
	v_cmp_ge_i32_e32 vcc_lo, v21, v20
	s_wait_alu 0xfffe
	s_or_b32 s13, s13, vcc_lo
	s_wait_alu 0xfffe
	s_and_b32 s13, exec_lo, s13
	s_wait_alu 0xfffe
	s_or_b32 s16, s13, s16
	s_wait_alu 0xfffe
	s_and_not1_b32 exec_lo, exec_lo, s16
	s_cbranch_execz .LBB4_194
.LBB4_57:                               ;   Parent Loop BB4_47 Depth=1
                                        ; =>  This Loop Header: Depth=2
                                        ;       Child Loop BB4_65 Depth 3
                                        ;       Child Loop BB4_89 Depth 3
	;; [unrolled: 1-line block ×9, first 2 shown]
	s_and_saveexec_b32 s13, s0
	s_cbranch_execz .LBB4_59
; %bb.58:                               ;   in Loop: Header=BB4_57 Depth=2
	s_trap 2
	ds_load_b64 v[12:13], v0
	s_wait_dscnt 0x0
	v_add_co_u32 v3, vcc_lo, v12, v149
	s_wait_alu 0xfffd
	v_add_co_ci_u32_e64 v9, null, v13, v150, vcc_lo
	v_ashrrev_i32_e32 v13, 31, v21
	s_delay_alu instid0(VALU_DEP_3) | instskip(SKIP_1) | instid1(VALU_DEP_3)
	v_add_co_u32 v3, vcc_lo, v3, v10
	s_wait_alu 0xfffd
	v_add_co_ci_u32_e64 v9, null, v9, v11, vcc_lo
	s_delay_alu instid0(VALU_DEP_2) | instskip(SKIP_1) | instid1(VALU_DEP_2)
	v_add_co_u32 v12, vcc_lo, v3, v21
	s_wait_alu 0xfffd
	v_add_co_ci_u32_e64 v13, null, v9, v13, vcc_lo
	v_mov_b32_e32 v3, v2
	ds_store_b64 v0, v[12:13]
	ds_store_b64 v0, v[2:3]
.LBB4_59:                               ;   in Loop: Header=BB4_57 Depth=2
	s_wait_alu 0xfffe
	s_or_b32 exec_lo, exec_lo, s13
	v_sub_nc_u32_e32 v3, v20, v21
	v_and_b32_e32 v9, 8, v30
	s_mov_b32 s14, exec_lo
	s_delay_alu instid0(VALU_DEP_2) | instskip(NEXT) | instid1(VALU_DEP_2)
	v_min_i32_e32 v8, v8, v3
	v_cmpx_ne_u32_e32 0, v9
	s_cbranch_execz .LBB4_81
; %bb.60:                               ;   in Loop: Header=BB4_57 Depth=2
	v_add_co_u32 v14, vcc_lo, v48, 8
	s_wait_alu 0xfffd
	v_add_co_ci_u32_e64 v15, null, 0, v49, vcc_lo
	v_add_co_u32 v12, vcc_lo, v64, 2
	s_wait_alu 0xfffd
	v_add_co_ci_u32_e64 v13, null, 0, v65, vcc_lo
	s_mov_b32 s19, exec_lo
	v_cmpx_lt_u64_e64 v[14:15], v[12:13]
	s_cbranch_execz .LBB4_72
; %bb.61:                               ;   in Loop: Header=BB4_57 Depth=2
	v_and_b32_e32 v3, 64, v30
	s_mov_b32 s20, 0
	s_mov_b32 s24, 0
                                        ; implicit-def: $sgpr21
                                        ; implicit-def: $sgpr22
                                        ; implicit-def: $sgpr23
	s_delay_alu instid0(VALU_DEP_1)
	v_cmp_eq_u32_e32 vcc_lo, 0, v3
	s_branch .LBB4_65
.LBB4_62:                               ;   in Loop: Header=BB4_65 Depth=3
	v_add_co_u32 v14, s13, v48, 8
	s_wait_alu 0xf1ff
	v_add_co_ci_u32_e64 v15, null, 0, v49, s13
	s_or_b32 s27, s27, exec_lo
	v_cmp_ge_u64_e64 s13, v[14:15], v[12:13]
	s_or_not1_b32 s26, s13, exec_lo
.LBB4_63:                               ;   in Loop: Header=BB4_65 Depth=3
	s_wait_alu 0xfffe
	s_or_b32 exec_lo, exec_lo, s29
	s_delay_alu instid0(SALU_CYCLE_1)
	s_and_not1_b32 s13, s23, exec_lo
	s_and_b32 s23, s27, exec_lo
	s_and_not1_b32 s22, s22, exec_lo
	s_and_b32 s26, s26, exec_lo
	s_wait_alu 0xfffe
	s_or_b32 s23, s13, s23
	s_or_b32 s22, s22, s26
.LBB4_64:                               ;   in Loop: Header=BB4_65 Depth=3
	s_wait_alu 0xfffe
	s_or_b32 exec_lo, exec_lo, s25
	s_delay_alu instid0(SALU_CYCLE_1)
	s_and_b32 s13, exec_lo, s22
	s_wait_alu 0xfffe
	s_or_b32 s20, s13, s20
	s_and_not1_b32 s13, s21, exec_lo
	s_and_b32 s21, s23, exec_lo
	s_wait_alu 0xfffe
	s_or_b32 s21, s13, s21
	s_and_not1_b32 exec_lo, exec_lo, s20
	s_cbranch_execz .LBB4_69
.LBB4_65:                               ;   Parent Loop BB4_47 Depth=1
                                        ;     Parent Loop BB4_57 Depth=2
                                        ; =>    This Inner Loop Header: Depth=3
	s_sleep 1
	flat_load_b64 v[48:49], v[32:33] scope:SCOPE_SYS
	s_wait_loadcnt_dscnt 0x0
	global_inv scope:SCOPE_SYS
	s_or_b32 s23, s23, exec_lo
	s_or_b32 s22, s22, exec_lo
                                        ; implicit-def: $vgpr3
	s_and_saveexec_b32 s25, vcc_lo
	s_cbranch_execz .LBB4_64
; %bb.66:                               ;   in Loop: Header=BB4_65 Depth=3
	s_wait_alu 0xfffe
	s_cmp_lt_i32 s24, 0x270f
	s_mov_b32 s26, -1
	s_cselect_b32 s28, -1, 0
	s_cmp_gt_i32 s24, 0x270e
	s_cbranch_scc0 .LBB4_68
; %bb.67:                               ;   in Loop: Header=BB4_65 Depth=3
	s_trap 2
	ds_load_b64 v[14:15], v0
	s_wait_alu 0xfffe
	s_and_not1_b32 s24, s28, exec_lo
	s_mov_b32 s27, 0
	s_wait_storecnt 0x0
	s_wait_loadcnt_dscnt 0x0
	flat_load_b32 v3, v[14:15] scope:SCOPE_SYS
	s_wait_loadcnt_dscnt 0x0
	global_inv scope:SCOPE_SYS
	v_cmp_eq_u32_e64 s13, 0, v3
	s_and_b32 s13, s13, exec_lo
	s_wait_alu 0xfffe
	s_or_b32 s28, s24, s13
	s_mov_b32 s24, 0
	s_wait_alu 0xfffe
	s_and_saveexec_b32 s29, s28
	s_cbranch_execz .LBB4_63
	s_branch .LBB4_62
.LBB4_68:                               ;   in Loop: Header=BB4_65 Depth=3
	s_add_co_i32 s24, s24, 1
	s_mov_b32 s27, -1
                                        ; implicit-def: $vgpr3
	s_wait_alu 0xfffe
	s_and_saveexec_b32 s29, s28
	s_cbranch_execz .LBB4_63
	s_branch .LBB4_62
.LBB4_69:                               ;   in Loop: Header=BB4_57 Depth=2
	s_or_b32 exec_lo, exec_lo, s20
	s_wait_alu 0xfffe
	s_xor_b32 s13, s21, -1
	s_wait_alu 0xfffe
	s_and_saveexec_b32 s20, s13
	s_wait_alu 0xfffe
	s_xor_b32 s13, exec_lo, s20
	s_cbranch_execz .LBB4_71
; %bb.70:                               ;   in Loop: Header=BB4_57 Depth=2
	v_or_b32_e32 v30, 64, v30
	s_wait_loadcnt 0x0
	s_wait_storecnt 0x0
	ds_store_b32 v0, v3
	s_trap 2
.LBB4_71:                               ;   in Loop: Header=BB4_57 Depth=2
	s_wait_alu 0xfffe
	s_or_b32 exec_lo, exec_lo, s13
.LBB4_72:                               ;   in Loop: Header=BB4_57 Depth=2
	s_wait_alu 0xfffe
	s_or_b32 exec_lo, exec_lo, s19
	v_and_b32_e32 v3, 0x100, v30
	s_mov_b32 s13, -1
	;;#ASMSTART
	s_wakeup
	;;#ASMEND
                                        ; implicit-def: $vgpr14_vgpr15
	s_delay_alu instid0(VALU_DEP_1)
	v_cmp_ne_u32_e32 vcc_lo, 0, v3
	v_and_b32_e32 v3, 7, v64
	s_and_saveexec_b32 s19, vcc_lo
	s_cbranch_execz .LBB4_76
; %bb.73:                               ;   in Loop: Header=BB4_57 Depth=2
	s_delay_alu instid0(VALU_DEP_1)
	v_mad_co_u64_u32 v[16:17], null, v3, 24, v[6:7]
	v_ashrrev_i32_e32 v9, 31, v8
	flat_load_b32 v14, v[16:17]
	flat_store_b64 v[16:17], v[8:9] offset:8
	s_wait_loadcnt_dscnt 0x1
	v_cmp_eq_u32_e64 s13, 1, v14
	v_cmp_ne_u32_e32 vcc_lo, 1, v14
                                        ; implicit-def: $vgpr14_vgpr15
	s_wait_alu 0xfffe
	s_and_saveexec_b32 s20, s13
	s_cbranch_execz .LBB4_75
; %bb.74:                               ;   in Loop: Header=BB4_57 Depth=2
	flat_load_b32 v14, v[16:17] offset:4 scope:SCOPE_SYS
	s_wait_loadcnt_dscnt 0x0
	v_ashrrev_i32_e32 v15, 31, v14
.LBB4_75:                               ;   in Loop: Header=BB4_57 Depth=2
	s_wait_alu 0xfffe
	s_or_b32 exec_lo, exec_lo, s20
	s_delay_alu instid0(SALU_CYCLE_1)
	s_or_not1_b32 s13, vcc_lo, exec_lo
.LBB4_76:                               ;   in Loop: Header=BB4_57 Depth=2
	s_wait_alu 0xfffe
	s_or_b32 exec_lo, exec_lo, s19
	s_and_saveexec_b32 s19, s13
; %bb.77:                               ;   in Loop: Header=BB4_57 Depth=2
	v_mad_co_i64_i32 v[14:15], null, v3, v100, 0
; %bb.78:                               ;   in Loop: Header=BB4_57 Depth=2
	s_wait_alu 0xfffe
	s_or_b32 exec_lo, exec_lo, s19
	s_delay_alu instid0(VALU_DEP_1) | instskip(SKIP_2) | instid1(VALU_DEP_3)
	v_add_co_u32 v14, vcc_lo, v34, v14
	v_and_b32_e32 v3, 0x2000, v30
	s_wait_alu 0xfffd
	v_add_co_ci_u32_e64 v15, null, v35, v15, vcc_lo
	s_mov_b32 s13, exec_lo
	ds_store_b64 v0, v[14:15] offset:784
	v_cmpx_ne_u32_e32 0, v3
	s_cbranch_execz .LBB4_80
; %bb.79:                               ;   in Loop: Header=BB4_57 Depth=2
	ds_load_b64 v[14:15], v0 offset:872
	s_wait_dscnt 0x0
	v_add_co_u32 v14, vcc_lo, v14, 1
	s_wait_alu 0xfffd
	v_add_co_ci_u32_e64 v15, null, 0, v15, vcc_lo
	ds_store_b64 v0, v[14:15] offset:872
.LBB4_80:                               ;   in Loop: Header=BB4_57 Depth=2
	s_wait_alu 0xfffe
	s_or_b32 exec_lo, exec_lo, s13
	v_dual_mov_b32 v65, v13 :: v_dual_mov_b32 v64, v12
.LBB4_81:                               ;   in Loop: Header=BB4_57 Depth=2
	s_wait_alu 0xfffe
	s_or_b32 exec_lo, exec_lo, s14
	s_and_saveexec_b32 s13, s2
	s_cbranch_execz .LBB4_100
; %bb.82:                               ;   in Loop: Header=BB4_57 Depth=2
	s_and_saveexec_b32 s14, s3
	s_wait_alu 0xfffe
	s_xor_b32 s14, exec_lo, s14
	s_cbranch_execz .LBB4_97
; %bb.83:                               ;   in Loop: Header=BB4_57 Depth=2
	s_and_saveexec_b32 s19, s6
	s_cbranch_execz .LBB4_96
; %bb.84:                               ;   in Loop: Header=BB4_57 Depth=2
	s_mov_b32 s21, exec_lo
	s_mov_b32 s20, exec_lo
	s_wait_alu 0xfffe
	v_mbcnt_lo_u32_b32 v3, s21, 0
	s_wait_storecnt 0x0
	s_wait_loadcnt_dscnt 0x0
	global_inv scope:SCOPE_DEV
	v_cmpx_eq_u32_e32 0, v3
	s_cbranch_execz .LBB4_86
; %bb.85:                               ;   in Loop: Header=BB4_57 Depth=2
	s_bcnt1_i32_b32 s21, s21
	s_wait_alu 0xfffe
	v_dual_mov_b32 v13, v2 :: v_dual_mov_b32 v12, s21
	s_wait_loadcnt 0x0
	ds_add_u64 v0, v[12:13]
	s_trap 2
.LBB4_86:                               ;   in Loop: Header=BB4_57 Depth=2
	s_or_b32 exec_lo, exec_lo, s20
	s_trap 2
	ds_load_b64 v[12:13], v0
	s_wait_dscnt 0x0
	global_inv scope:SCOPE_SE
	v_add_co_u32 v38, vcc_lo, v38, v103
	s_wait_alu 0xfffd
	v_add_co_ci_u32_e64 v39, null, 0, v39, vcc_lo
	s_mov_b32 s20, exec_lo
	v_cmpx_lt_u64_e64 v[12:13], v[38:39]
	s_cbranch_execz .LBB4_95
; %bb.87:                               ;   in Loop: Header=BB4_57 Depth=2
	s_mov_b32 s21, 0
	s_mov_b32 s24, 0
                                        ; implicit-def: $sgpr22
                                        ; implicit-def: $sgpr23
	s_branch .LBB4_89
.LBB4_88:                               ;   in Loop: Header=BB4_89 Depth=3
	s_wait_alu 0xfffe
	s_or_b32 exec_lo, exec_lo, s26
	s_delay_alu instid0(SALU_CYCLE_1)
	s_and_b32 s25, exec_lo, s27
	s_wait_alu 0xfffe
	s_or_b32 s21, s25, s21
	s_and_not1_b32 s22, s22, exec_lo
	s_and_b32 s25, s23, exec_lo
	s_wait_alu 0xfffe
	s_or_b32 s22, s22, s25
	s_and_not1_b32 exec_lo, exec_lo, s21
	s_cbranch_execz .LBB4_93
.LBB4_89:                               ;   Parent Loop BB4_47 Depth=1
                                        ;     Parent Loop BB4_57 Depth=2
                                        ; =>    This Inner Loop Header: Depth=3
	s_wait_alu 0xfffe
	s_add_co_i32 s24, s24, 1
	s_wait_alu 0xfffe
	s_cmp_lg_u32 s24, 0x2710
	s_cselect_b32 s25, -1, 0
	s_wait_alu 0xfffe
	s_and_b32 vcc_lo, exec_lo, s25
	s_wait_alu 0xfffe
	s_cbranch_vccz .LBB4_91
; %bb.90:                               ;   in Loop: Header=BB4_89 Depth=3
	s_mov_b32 s27, -1
	s_or_b32 s23, s23, exec_lo
	s_and_saveexec_b32 s26, s25
	s_cbranch_execz .LBB4_88
	s_branch .LBB4_92
.LBB4_91:                               ;   in Loop: Header=BB4_89 Depth=3
	s_trap 2
	ds_load_b64 v[12:13], v0
	s_and_not1_b32 s25, s25, exec_lo
	s_mov_b32 s24, 0
	s_wait_loadcnt_dscnt 0x0
	flat_load_b32 v3, v[12:13] scope:SCOPE_SYS
	s_wait_loadcnt_dscnt 0x0
	global_inv scope:SCOPE_SYS
	v_cmp_eq_u32_e32 vcc_lo, 0, v3
	s_and_b32 s26, vcc_lo, exec_lo
	s_wait_alu 0xfffe
	s_or_b32 s25, s25, s26
	s_mov_b32 s27, -1
	s_or_b32 s23, s23, exec_lo
	s_wait_alu 0xfffe
	s_and_saveexec_b32 s26, s25
	s_cbranch_execz .LBB4_88
.LBB4_92:                               ;   in Loop: Header=BB4_89 Depth=3
	s_sleep 1
	s_trap 2
	ds_load_b64 v[12:13], v0
	s_wait_dscnt 0x0
	global_inv scope:SCOPE_SE
	s_wait_alu 0xfffe
	s_and_not1_b32 s23, s23, exec_lo
	v_cmp_ge_u64_e32 vcc_lo, v[12:13], v[38:39]
	s_or_not1_b32 s27, vcc_lo, exec_lo
	s_branch .LBB4_88
.LBB4_93:                               ;   in Loop: Header=BB4_57 Depth=2
	s_or_b32 exec_lo, exec_lo, s21
	s_wait_alu 0xfffe
	s_and_saveexec_b32 s21, s22
	s_wait_alu 0xfffe
	s_xor_b32 s21, exec_lo, s21
	s_cbranch_execz .LBB4_95
; %bb.94:                               ;   in Loop: Header=BB4_57 Depth=2
	ds_store_b32 v0, v113
	s_trap 2
.LBB4_95:                               ;   in Loop: Header=BB4_57 Depth=2
	s_wait_alu 0xfffe
	s_or_b32 exec_lo, exec_lo, s20
	;;#ASMSTART
	s_wakeup
	;;#ASMEND
.LBB4_96:                               ;   in Loop: Header=BB4_57 Depth=2
	s_wait_alu 0xfffe
	s_or_b32 exec_lo, exec_lo, s19
.LBB4_97:                               ;   in Loop: Header=BB4_57 Depth=2
	s_wait_alu 0xfffe
	s_and_not1_saveexec_b32 s14, s14
	s_cbranch_execz .LBB4_99
; %bb.98:                               ;   in Loop: Header=BB4_57 Depth=2
	s_wait_storecnt 0x0
	s_wait_loadcnt_dscnt 0x0
	global_inv scope:SCOPE_DEV
	s_barrier_signal -1
	s_barrier_wait -1
.LBB4_99:                               ;   in Loop: Header=BB4_57 Depth=2
	s_wait_alu 0xfffe
	s_or_b32 exec_lo, exec_lo, s14
.LBB4_100:                              ;   in Loop: Header=BB4_57 Depth=2
	s_wait_alu 0xfffe
	s_or_b32 exec_lo, exec_lo, s13
	s_trap 2
	ds_load_b32 v3, v0
	v_and_b32_e32 v9, 0x4000, v30
	s_xor_b32 s13, s1, -1
	s_delay_alu instid0(VALU_DEP_1)
	v_cmp_ne_u32_e32 vcc_lo, 0, v9
	s_wait_alu 0xfffe
	s_and_b32 s14, s13, vcc_lo
	s_wait_alu 0xfffe
	s_and_saveexec_b32 s13, s14
	s_cbranch_execz .LBB4_119
; %bb.101:                              ;   in Loop: Header=BB4_57 Depth=2
	s_and_saveexec_b32 s14, s3
	s_wait_alu 0xfffe
	s_xor_b32 s14, exec_lo, s14
	s_cbranch_execz .LBB4_116
; %bb.102:                              ;   in Loop: Header=BB4_57 Depth=2
	s_and_saveexec_b32 s19, s6
	s_cbranch_execz .LBB4_115
; %bb.103:                              ;   in Loop: Header=BB4_57 Depth=2
	s_mov_b32 s21, exec_lo
	s_mov_b32 s20, exec_lo
	s_wait_alu 0xfffe
	v_mbcnt_lo_u32_b32 v9, s21, 0
	s_wait_storecnt 0x0
	s_wait_loadcnt_dscnt 0x0
	global_inv scope:SCOPE_DEV
	v_cmpx_eq_u32_e32 0, v9
	s_cbranch_execz .LBB4_105
; %bb.104:                              ;   in Loop: Header=BB4_57 Depth=2
	s_bcnt1_i32_b32 s21, s21
	s_wait_alu 0xfffe
	v_dual_mov_b32 v13, v2 :: v_dual_mov_b32 v12, s21
	s_wait_loadcnt 0x0
	ds_add_u64 v0, v[12:13]
	s_trap 2
.LBB4_105:                              ;   in Loop: Header=BB4_57 Depth=2
	s_or_b32 exec_lo, exec_lo, s20
	s_trap 2
	ds_load_b64 v[12:13], v0
	s_wait_dscnt 0x0
	global_inv scope:SCOPE_SE
	v_add_co_u32 v38, vcc_lo, v38, v103
	s_wait_alu 0xfffd
	v_add_co_ci_u32_e64 v39, null, 0, v39, vcc_lo
	s_mov_b32 s20, exec_lo
	v_cmpx_lt_u64_e64 v[12:13], v[38:39]
	s_cbranch_execz .LBB4_114
; %bb.106:                              ;   in Loop: Header=BB4_57 Depth=2
	s_mov_b32 s21, 0
	s_mov_b32 s24, 0
                                        ; implicit-def: $sgpr22
                                        ; implicit-def: $sgpr23
	s_branch .LBB4_108
.LBB4_107:                              ;   in Loop: Header=BB4_108 Depth=3
	s_wait_alu 0xfffe
	s_or_b32 exec_lo, exec_lo, s26
	s_delay_alu instid0(SALU_CYCLE_1)
	s_and_b32 s25, exec_lo, s27
	s_wait_alu 0xfffe
	s_or_b32 s21, s25, s21
	s_and_not1_b32 s22, s22, exec_lo
	s_and_b32 s25, s23, exec_lo
	s_wait_alu 0xfffe
	s_or_b32 s22, s22, s25
	s_and_not1_b32 exec_lo, exec_lo, s21
	s_cbranch_execz .LBB4_112
.LBB4_108:                              ;   Parent Loop BB4_47 Depth=1
                                        ;     Parent Loop BB4_57 Depth=2
                                        ; =>    This Inner Loop Header: Depth=3
	s_wait_alu 0xfffe
	s_add_co_i32 s24, s24, 1
	s_wait_alu 0xfffe
	s_cmp_lg_u32 s24, 0x2710
	s_cselect_b32 s25, -1, 0
	s_wait_alu 0xfffe
	s_and_b32 vcc_lo, exec_lo, s25
	s_wait_alu 0xfffe
	s_cbranch_vccz .LBB4_110
; %bb.109:                              ;   in Loop: Header=BB4_108 Depth=3
	s_mov_b32 s27, -1
	s_or_b32 s23, s23, exec_lo
	s_and_saveexec_b32 s26, s25
	s_cbranch_execz .LBB4_107
	s_branch .LBB4_111
.LBB4_110:                              ;   in Loop: Header=BB4_108 Depth=3
	s_trap 2
	ds_load_b64 v[12:13], v0
	s_and_not1_b32 s25, s25, exec_lo
	s_mov_b32 s24, 0
	s_wait_loadcnt_dscnt 0x0
	flat_load_b32 v9, v[12:13] scope:SCOPE_SYS
	s_wait_loadcnt_dscnt 0x0
	global_inv scope:SCOPE_SYS
	v_cmp_eq_u32_e32 vcc_lo, 0, v9
	s_and_b32 s26, vcc_lo, exec_lo
	s_wait_alu 0xfffe
	s_or_b32 s25, s25, s26
	s_mov_b32 s27, -1
	s_or_b32 s23, s23, exec_lo
	s_wait_alu 0xfffe
	s_and_saveexec_b32 s26, s25
	s_cbranch_execz .LBB4_107
.LBB4_111:                              ;   in Loop: Header=BB4_108 Depth=3
	s_sleep 1
	s_trap 2
	ds_load_b64 v[12:13], v0
	s_wait_dscnt 0x0
	global_inv scope:SCOPE_SE
	s_wait_alu 0xfffe
	s_and_not1_b32 s23, s23, exec_lo
	v_cmp_ge_u64_e32 vcc_lo, v[12:13], v[38:39]
	s_or_not1_b32 s27, vcc_lo, exec_lo
	s_branch .LBB4_107
.LBB4_112:                              ;   in Loop: Header=BB4_57 Depth=2
	s_or_b32 exec_lo, exec_lo, s21
	s_wait_alu 0xfffe
	s_and_saveexec_b32 s21, s22
	s_wait_alu 0xfffe
	s_xor_b32 s21, exec_lo, s21
	s_cbranch_execz .LBB4_114
; %bb.113:                              ;   in Loop: Header=BB4_57 Depth=2
	ds_store_b32 v0, v113
	s_trap 2
.LBB4_114:                              ;   in Loop: Header=BB4_57 Depth=2
	s_wait_alu 0xfffe
	s_or_b32 exec_lo, exec_lo, s20
	;;#ASMSTART
	s_wakeup
	;;#ASMEND
.LBB4_115:                              ;   in Loop: Header=BB4_57 Depth=2
	s_wait_alu 0xfffe
	s_or_b32 exec_lo, exec_lo, s19
.LBB4_116:                              ;   in Loop: Header=BB4_57 Depth=2
	s_wait_alu 0xfffe
	s_and_not1_saveexec_b32 s14, s14
	s_cbranch_execz .LBB4_118
; %bb.117:                              ;   in Loop: Header=BB4_57 Depth=2
	s_wait_storecnt 0x0
	s_wait_loadcnt_dscnt 0x0
	global_inv scope:SCOPE_DEV
	s_barrier_signal -1
	s_barrier_wait -1
.LBB4_118:                              ;   in Loop: Header=BB4_57 Depth=2
	s_wait_alu 0xfffe
	s_or_b32 exec_lo, exec_lo, s14
.LBB4_119:                              ;   in Loop: Header=BB4_57 Depth=2
	s_wait_alu 0xfffe
	s_or_b32 exec_lo, exec_lo, s13
	s_trap 2
	ds_load_b64 v[12:13], v0
	s_wait_dscnt 0x0
	v_cmp_eq_u64_e32 vcc_lo, 0, v[12:13]
	s_cbranch_vccnz .LBB4_127
; %bb.120:                              ;   in Loop: Header=BB4_57 Depth=2
	s_trap 2
	ds_load_b64 v[14:15], v0
	s_wait_dscnt 0x0
	v_cmp_eq_u64_e32 vcc_lo, 0, v[14:15]
	s_cbranch_vccnz .LBB4_127
; %bb.121:                              ;   in Loop: Header=BB4_57 Depth=2
	s_mov_b32 s13, -1
	s_and_saveexec_b32 s14, s7
	s_cbranch_execz .LBB4_123
; %bb.122:                              ;   in Loop: Header=BB4_57 Depth=2
	ds_load_b32 v9, v0 offset:720
	s_wait_dscnt 0x0
	v_and_b32_e32 v9, 15, v9
	s_delay_alu instid0(VALU_DEP_1)
	v_cmp_eq_u32_e32 vcc_lo, 0, v9
	s_or_not1_b32 s13, vcc_lo, exec_lo
.LBB4_123:                              ;   in Loop: Header=BB4_57 Depth=2
	s_wait_alu 0xfffe
	s_or_b32 exec_lo, exec_lo, s14
	s_and_saveexec_b32 s14, s11
	s_cbranch_execz .LBB4_125
; %bb.124:                              ;   in Loop: Header=BB4_57 Depth=2
	ds_load_b32 v9, v0 offset:784
	s_wait_dscnt 0x0
	v_and_b32_e32 v9, 15, v9
	s_delay_alu instid0(VALU_DEP_1)
	v_cmp_eq_u32_e32 vcc_lo, 0, v9
	s_and_b32 s19, s13, vcc_lo
	s_and_not1_b32 s13, s13, exec_lo
	s_wait_alu 0xfffe
	s_and_b32 s19, s19, exec_lo
	s_wait_alu 0xfffe
	s_or_b32 s13, s13, s19
.LBB4_125:                              ;   in Loop: Header=BB4_57 Depth=2
	s_wait_alu 0xfffe
	s_or_b32 exec_lo, exec_lo, s14
	v_cmp_eq_u32_e32 vcc_lo, 0, v3
	s_xor_b32 s13, s13, -1
	v_mov_b32_e32 v17, v0
	s_wait_alu 0xfffe
	v_cndmask_b32_e64 v9, 0, 1, s13
	v_mov_b32_e32 v69, v130
	s_wait_alu 0xfffd
	v_cndmask_b32_e32 v3, 0, v8, vcc_lo
	s_mov_b32 s13, -1
	v_cmp_ne_u32_e32 vcc_lo, 0, v9
	s_delay_alu instid0(VALU_DEP_2)
	v_dual_mov_b32 v9, 0 :: v_dual_mov_b32 v16, v3
	s_cbranch_vccz .LBB4_132
; %bb.126:                              ;   in Loop: Header=BB4_57 Depth=2
	s_wait_alu 0xfffe
	s_and_saveexec_b32 s14, s13
	s_cbranch_execnz .LBB4_145
	s_branch .LBB4_153
.LBB4_127:                              ;   in Loop: Header=BB4_57 Depth=2
	s_mov_b32 s13, 0
	s_and_saveexec_b32 s14, s2
	s_cbranch_execnz .LBB4_154
.LBB4_128:                              ;   in Loop: Header=BB4_57 Depth=2
	s_wait_alu 0xfffe
	s_or_b32 exec_lo, exec_lo, s14
                                        ; implicit-def: $vgpr3
	s_and_saveexec_b32 s14, s10
	s_wait_alu 0xfffe
	s_xor_b32 s14, exec_lo, s14
	s_cbranch_execz .LBB4_172
.LBB4_129:                              ;   in Loop: Header=BB4_57 Depth=2
	v_and_b32_e32 v3, 16, v30
	s_delay_alu instid0(VALU_DEP_1)
	v_cmp_ne_u32_e32 vcc_lo, 0, v3
	v_and_b32_e32 v3, 16, v30
	s_and_b32 s19, vcc_lo, s13
	s_wait_alu 0xfffe
	s_and_saveexec_b32 s13, s19
	s_cbranch_execz .LBB4_131
; %bb.130:                              ;   in Loop: Header=BB4_57 Depth=2
	v_mov_b32_e32 v3, 1
	global_wb scope:SCOPE_SYS
	s_wait_storecnt 0x0
	s_wait_loadcnt_dscnt 0x0
	global_inv scope:SCOPE_SYS
.LBB4_131:                              ;   in Loop: Header=BB4_57 Depth=2
	s_wait_alu 0xfffe
	s_or_b32 exec_lo, exec_lo, s13
	s_and_not1_saveexec_b32 s13, s14
	s_cbranch_execz .LBB4_191
	s_branch .LBB4_173
.LBB4_132:                              ;   in Loop: Header=BB4_57 Depth=2
	v_ashrrev_i32_e32 v9, 31, v3
	s_mov_b32 s14, exec_lo
	s_delay_alu instid0(VALU_DEP_1) | instskip(NEXT) | instid1(VALU_DEP_1)
	v_lshrrev_b32_e32 v9, 21, v9
	v_add_nc_u32_e32 v9, v3, v9
	s_delay_alu instid0(VALU_DEP_1) | instskip(NEXT) | instid1(VALU_DEP_1)
	v_ashrrev_i32_e32 v9, 11, v9
	v_sub_nc_u32_e32 v22, v9, v130
	s_delay_alu instid0(VALU_DEP_1)
	v_cmpx_lt_i32_e32 0, v22
	s_cbranch_execz .LBB4_136
; %bb.133:                              ;   in Loop: Header=BB4_57 Depth=2
	v_dual_mov_b32 v17, v15 :: v_dual_mov_b32 v16, v14
	v_dual_mov_b32 v19, v13 :: v_dual_mov_b32 v18, v12
	s_mov_b32 s19, 0
.LBB4_134:                              ;   Parent Loop BB4_47 Depth=1
                                        ;     Parent Loop BB4_57 Depth=2
                                        ; =>    This Inner Loop Header: Depth=3
	s_delay_alu instid0(VALU_DEP_1) | instskip(SKIP_1) | instid1(VALU_DEP_2)
	v_add_co_u32 v96, vcc_lo, v135, v18
	s_wait_alu 0xfffd
	v_add_co_ci_u32_e64 v97, null, v147, v19, vcc_lo
	v_sub_nc_u32_e32 v22, v22, v103
	v_add_co_u32 v160, vcc_lo, v135, v16
	s_clause 0x3
	global_load_b128 v[68:71], v[96:97], off th:TH_LOAD_NT
	global_load_b128 v[80:83], v[96:97], off offset:512 th:TH_LOAD_NT
	global_load_b128 v[84:87], v[96:97], off offset:1024 th:TH_LOAD_NT
	global_load_b128 v[96:99], v[96:97], off offset:1536 th:TH_LOAD_NT
	s_wait_alu 0xfffd
	v_add_co_ci_u32_e64 v161, null, v147, v17, vcc_lo
	v_add_co_u32 v18, vcc_lo, v18, v116
	s_wait_alu 0xfffd
	v_add_co_ci_u32_e64 v19, null, 0, v19, vcc_lo
	v_add_co_u32 v16, vcc_lo, v16, v116
	v_cmp_gt_i32_e64 s13, 1, v22
	s_wait_alu 0xfffd
	v_add_co_ci_u32_e64 v17, null, 0, v17, vcc_lo
	s_wait_loadcnt 0x3
	global_store_b128 v[160:161], v[68:71], off th:TH_STORE_NT
	s_wait_loadcnt 0x2
	global_store_b128 v[160:161], v[80:83], off offset:512 th:TH_STORE_NT
	s_wait_loadcnt 0x1
	global_store_b128 v[160:161], v[84:87], off offset:1024 th:TH_STORE_NT
	;; [unrolled: 2-line block ×3, first 2 shown]
	s_wait_alu 0xfffe
	s_or_b32 s19, s13, s19
	s_wait_alu 0xfffe
	s_and_not1_b32 exec_lo, exec_lo, s19
	s_cbranch_execnz .LBB4_134
; %bb.135:                              ;   in Loop: Header=BB4_57 Depth=2
	s_or_b32 exec_lo, exec_lo, s19
.LBB4_136:                              ;   in Loop: Header=BB4_57 Depth=2
	s_wait_alu 0xfffe
	s_or_b32 exec_lo, exec_lo, s14
	v_dual_mov_b32 v9, 0 :: v_dual_lshlrev_b32 v18, 11, v9
	s_mov_b32 s13, 0
	s_mov_b32 s19, exec_lo
                                        ; implicit-def: $vgpr16
                                        ; implicit-def: $vgpr17
                                        ; implicit-def: $vgpr69
	s_delay_alu instid0(VALU_DEP_1)
	v_cmpx_ne_u32_e64 v3, v18
	s_cbranch_execz .LBB4_144
; %bb.137:                              ;   in Loop: Header=BB4_57 Depth=2
	v_lshlrev_b32_e32 v9, 5, v22
	v_sub_nc_u32_e32 v17, v3, v18
	s_mov_b32 s20, exec_lo
	s_delay_alu instid0(VALU_DEP_2) | instskip(NEXT) | instid1(VALU_DEP_2)
	v_sub_nc_u32_e32 v9, v132, v9
	v_ashrrev_i32_e32 v19, 31, v17
	s_delay_alu instid0(VALU_DEP_2) | instskip(NEXT) | instid1(VALU_DEP_2)
	v_ashrrev_i32_e32 v16, 31, v9
	v_lshrrev_b32_e32 v19, 23, v19
	s_delay_alu instid0(VALU_DEP_2) | instskip(NEXT) | instid1(VALU_DEP_2)
	v_lshrrev_b32_e32 v16, 27, v16
	v_add_nc_u32_e32 v68, v17, v19
	s_delay_alu instid0(VALU_DEP_2) | instskip(NEXT) | instid1(VALU_DEP_2)
	v_add_nc_u32_e32 v16, v9, v16
	v_and_b32_e32 v19, 0xfffffe00, v68
	v_ashrrev_i32_e32 v68, 9, v68
	s_delay_alu instid0(VALU_DEP_3) | instskip(NEXT) | instid1(VALU_DEP_3)
	v_and_b32_e32 v22, 0xffffffe0, v16
	v_sub_nc_u32_e32 v23, v17, v19
	v_ashrrev_i32_e32 v69, 5, v16
	s_delay_alu instid0(VALU_DEP_3) | instskip(NEXT) | instid1(VALU_DEP_3)
	v_sub_nc_u32_e32 v22, v9, v22
	v_cmp_lt_i32_e32 vcc_lo, 15, v23
	s_delay_alu instid0(VALU_DEP_2) | instskip(SKIP_2) | instid1(VALU_DEP_2)
	v_lshlrev_b32_e32 v9, 4, v22
	s_wait_alu 0xfffd
	v_add_co_ci_u32_e64 v68, null, 0, v68, vcc_lo
	v_lshl_add_u32 v16, v69, 9, v9
	s_delay_alu instid0(VALU_DEP_2) | instskip(NEXT) | instid1(VALU_DEP_2)
	v_sub_nc_u32_e32 v68, v68, v69
	v_sub_nc_u32_e32 v9, v17, v16
	s_delay_alu instid0(VALU_DEP_1)
	v_cmpx_lt_i32_e32 15, v9
	s_cbranch_execz .LBB4_141
; %bb.138:                              ;   in Loop: Header=BB4_57 Depth=2
	v_add_nc_u32_e32 v16, v16, v18
	s_mov_b32 s21, 0
	s_delay_alu instid0(VALU_DEP_1)
	v_ashrrev_i32_e32 v17, 31, v16
.LBB4_139:                              ;   Parent Loop BB4_47 Depth=1
                                        ;     Parent Loop BB4_57 Depth=2
                                        ; =>    This Inner Loop Header: Depth=3
	v_add_co_u32 v69, s13, v12, v16
	s_wait_alu 0xf1fe
	s_delay_alu instid0(VALU_DEP_2)
	v_add_co_ci_u32_e64 v70, null, v13, v17, s13
	v_sub_nc_u32_e32 v9, v9, v117
	v_sub_nc_u32_e32 v68, v68, v103
	global_load_b128 v[80:83], v[69:70], off th:TH_LOAD_NT
	v_add_co_u32 v69, s13, v14, v16
	s_wait_alu 0xf1ff
	v_add_co_ci_u32_e64 v70, null, v15, v17, s13
	v_cmp_gt_i32_e64 s13, 16, v9
	v_add_co_u32 v16, s14, v16, v117
	s_wait_alu 0xf1ff
	v_add_co_ci_u32_e64 v17, null, 0, v17, s14
	s_or_b32 s21, s13, s21
	s_wait_loadcnt 0x0
	global_store_b128 v[69:70], v[80:83], off th:TH_STORE_NT
	s_wait_alu 0xfffe
	s_and_not1_b32 exec_lo, exec_lo, s21
	s_cbranch_execnz .LBB4_139
; %bb.140:                              ;   in Loop: Header=BB4_57 Depth=2
	s_or_b32 exec_lo, exec_lo, s21
.LBB4_141:                              ;   in Loop: Header=BB4_57 Depth=2
	s_wait_alu 0xfffe
	s_or_b32 exec_lo, exec_lo, s20
	v_dual_mov_b32 v9, 0 :: v_dual_and_b32 v70, 15, v3
	s_mov_b32 s14, 0
	s_mov_b32 s20, exec_lo
                                        ; implicit-def: $vgpr17
                                        ; implicit-def: $vgpr69
	s_delay_alu instid0(VALU_DEP_1) | instskip(NEXT) | instid1(VALU_DEP_1)
	v_cndmask_b32_e32 v16, v23, v70, vcc_lo
	v_cmpx_ne_u32_e32 0, v16
	s_cbranch_execz .LBB4_143
; %bb.142:                              ;   in Loop: Header=BB4_57 Depth=2
	v_cmp_lt_i32_e64 s13, 0, v68
	s_mov_b32 s14, exec_lo
	s_wait_alu 0xf1ff
	v_cndmask_b32_e64 v9, 0, v103, s13
	s_delay_alu instid0(VALU_DEP_1) | instskip(NEXT) | instid1(VALU_DEP_1)
	v_sub_nc_u32_e32 v9, v9, v68
	v_lshl_add_u32 v17, v9, 5, v22
	v_sub_nc_u32_e32 v22, v23, v70
	s_delay_alu instid0(VALU_DEP_2) | instskip(NEXT) | instid1(VALU_DEP_1)
	v_ashrrev_i32_e32 v9, 31, v17
	v_lshrrev_b32_e32 v9, 27, v9
	s_delay_alu instid0(VALU_DEP_1) | instskip(NEXT) | instid1(VALU_DEP_1)
	v_dual_cndmask_b32 v22, 0, v22 :: v_dual_add_nc_u32 v23, v17, v9
	v_add3_u32 v9, v19, v18, v22
	s_delay_alu instid0(VALU_DEP_2)
	v_ashrrev_i32_e32 v69, 5, v23
.LBB4_143:                              ;   in Loop: Header=BB4_57 Depth=2
	s_wait_alu 0xfffe
	s_or_b32 exec_lo, exec_lo, s20
	s_delay_alu instid0(SALU_CYCLE_1)
	s_and_b32 s13, s14, exec_lo
.LBB4_144:                              ;   in Loop: Header=BB4_57 Depth=2
	s_wait_alu 0xfffe
	s_or_b32 exec_lo, exec_lo, s19
	s_and_saveexec_b32 s14, s13
	s_cbranch_execz .LBB4_153
.LBB4_145:                              ;   in Loop: Header=BB4_57 Depth=2
	v_ashrrev_i32_e32 v18, 31, v16
	v_ashrrev_i32_e32 v19, 31, v17
	s_mov_b32 s13, exec_lo
	s_delay_alu instid0(VALU_DEP_2) | instskip(NEXT) | instid1(VALU_DEP_2)
	v_lshrrev_b32_e32 v18, 23, v18
	v_lshrrev_b32_e32 v19, 27, v19
	s_delay_alu instid0(VALU_DEP_2) | instskip(NEXT) | instid1(VALU_DEP_1)
	v_add_nc_u32_e32 v18, v16, v18
	v_ashrrev_i32_e32 v22, 9, v18
	s_delay_alu instid0(VALU_DEP_1) | instskip(NEXT) | instid1(VALU_DEP_1)
	v_sub_nc_u32_e32 v18, v22, v69
	v_cmpx_lt_i32_e32 0, v18
	s_cbranch_execz .LBB4_149
; %bb.146:                              ;   in Loop: Header=BB4_57 Depth=2
	v_add_nc_u32_e32 v23, v17, v19
	v_lshlrev_b32_e32 v68, 9, v69
	s_mov_b32 s19, 0
	s_delay_alu instid0(VALU_DEP_2) | instskip(NEXT) | instid1(VALU_DEP_1)
	v_and_b32_e32 v23, 0xffffffe0, v23
	v_sub_nc_u32_e32 v23, v17, v23
	s_delay_alu instid0(VALU_DEP_1) | instskip(NEXT) | instid1(VALU_DEP_1)
	v_add3_u32 v23, v9, v23, v68
	v_ashrrev_i32_e32 v68, 31, v23
.LBB4_147:                              ;   Parent Loop BB4_47 Depth=1
                                        ;     Parent Loop BB4_57 Depth=2
                                        ; =>    This Inner Loop Header: Depth=3
	v_add_co_u32 v69, vcc_lo, v23, v12
	s_wait_alu 0xfffd
	s_delay_alu instid0(VALU_DEP_2)
	v_add_co_ci_u32_e64 v70, null, v68, v13, vcc_lo
	v_sub_nc_u32_e32 v18, v18, v103
	s_clause 0xf
	flat_load_u8 v71, v[69:70] th:TH_LOAD_NT
	flat_load_u8 v80, v[69:70] offset:32 th:TH_LOAD_NT
	flat_load_u8 v81, v[69:70] offset:64 th:TH_LOAD_NT
	flat_load_u8 v82, v[69:70] offset:96 th:TH_LOAD_NT
	flat_load_u8 v83, v[69:70] offset:128 th:TH_LOAD_NT
	flat_load_u8 v84, v[69:70] offset:160 th:TH_LOAD_NT
	flat_load_u8 v85, v[69:70] offset:192 th:TH_LOAD_NT
	flat_load_u8 v86, v[69:70] offset:224 th:TH_LOAD_NT
	flat_load_u8 v87, v[69:70] offset:256 th:TH_LOAD_NT
	flat_load_u8 v96, v[69:70] offset:288 th:TH_LOAD_NT
	flat_load_u8 v97, v[69:70] offset:320 th:TH_LOAD_NT
	flat_load_u8 v98, v[69:70] offset:352 th:TH_LOAD_NT
	flat_load_u8 v99, v[69:70] offset:384 th:TH_LOAD_NT
	flat_load_u8 v151, v[69:70] offset:416 th:TH_LOAD_NT
	flat_load_u8 v160, v[69:70] offset:448 th:TH_LOAD_NT
	flat_load_u8 v161, v[69:70] offset:480 th:TH_LOAD_NT
	v_add_co_u32 v69, vcc_lo, v23, v14
	s_wait_alu 0xfffd
	v_add_co_ci_u32_e64 v70, null, v68, v15, vcc_lo
	v_add_co_u32 v12, vcc_lo, v12, v117
	s_wait_alu 0xfffd
	v_add_co_ci_u32_e64 v13, null, 0, v13, vcc_lo
	;; [unrolled: 3-line block ×3, first 2 shown]
	v_cmp_gt_i32_e32 vcc_lo, 1, v18
	s_wait_loadcnt_dscnt 0xf0f
	flat_store_b8 v[69:70], v71 th:TH_STORE_NT
	s_wait_loadcnt_dscnt 0xe0f
	flat_store_b8 v[69:70], v80 offset:32 th:TH_STORE_NT
	s_wait_loadcnt_dscnt 0xd0f
	flat_store_b8 v[69:70], v81 offset:64 th:TH_STORE_NT
	s_wait_loadcnt_dscnt 0xc0f
	flat_store_b8 v[69:70], v82 offset:96 th:TH_STORE_NT
	s_wait_loadcnt_dscnt 0xb0f
	flat_store_b8 v[69:70], v83 offset:128 th:TH_STORE_NT
	s_wait_loadcnt_dscnt 0xa0f
	flat_store_b8 v[69:70], v84 offset:160 th:TH_STORE_NT
	s_wait_loadcnt_dscnt 0x90f
	flat_store_b8 v[69:70], v85 offset:192 th:TH_STORE_NT
	s_wait_loadcnt_dscnt 0x80f
	flat_store_b8 v[69:70], v86 offset:224 th:TH_STORE_NT
	s_wait_loadcnt_dscnt 0x70f
	flat_store_b8 v[69:70], v87 offset:256 th:TH_STORE_NT
	s_wait_loadcnt_dscnt 0x60f
	flat_store_b8 v[69:70], v96 offset:288 th:TH_STORE_NT
	s_wait_loadcnt_dscnt 0x50f
	flat_store_b8 v[69:70], v97 offset:320 th:TH_STORE_NT
	s_wait_loadcnt_dscnt 0x40f
	flat_store_b8 v[69:70], v98 offset:352 th:TH_STORE_NT
	s_wait_loadcnt_dscnt 0x30f
	flat_store_b8 v[69:70], v99 offset:384 th:TH_STORE_NT
	s_wait_loadcnt_dscnt 0x20f
	flat_store_b8 v[69:70], v151 offset:416 th:TH_STORE_NT
	s_wait_loadcnt_dscnt 0x10f
	flat_store_b8 v[69:70], v160 offset:448 th:TH_STORE_NT
	s_wait_loadcnt_dscnt 0xf
	flat_store_b8 v[69:70], v161 offset:480 th:TH_STORE_NT
	s_wait_alu 0xfffe
	s_or_b32 s19, vcc_lo, s19
	s_wait_alu 0xfffe
	s_and_not1_b32 exec_lo, exec_lo, s19
	s_cbranch_execnz .LBB4_147
; %bb.148:                              ;   in Loop: Header=BB4_57 Depth=2
	s_or_b32 exec_lo, exec_lo, s19
.LBB4_149:                              ;   in Loop: Header=BB4_57 Depth=2
	s_wait_alu 0xfffe
	s_or_b32 exec_lo, exec_lo, s13
	v_lshlrev_b32_e32 v12, 9, v22
	s_delay_alu instid0(VALU_DEP_1)
	v_cmp_ne_u32_e32 vcc_lo, v16, v12
	s_and_b32 exec_lo, exec_lo, vcc_lo
	s_cbranch_execz .LBB4_153
; %bb.150:                              ;   in Loop: Header=BB4_57 Depth=2
	v_add_nc_u32_e32 v13, v17, v19
	v_lshlrev_b32_e32 v14, 5, v18
	s_delay_alu instid0(VALU_DEP_2) | instskip(NEXT) | instid1(VALU_DEP_1)
	v_and_b32_e32 v13, 0xffffffe0, v13
	v_sub_nc_u32_e32 v13, v17, v13
	s_delay_alu instid0(VALU_DEP_1) | instskip(NEXT) | instid1(VALU_DEP_1)
	v_sub_nc_u32_e32 v13, v13, v14
	v_add_nc_u32_e32 v15, v12, v13
	s_delay_alu instid0(VALU_DEP_1) | instskip(NEXT) | instid1(VALU_DEP_1)
	v_sub_nc_u32_e32 v14, v16, v15
	v_cmp_lt_i32_e32 vcc_lo, 0, v14
	s_and_b32 exec_lo, exec_lo, vcc_lo
	s_cbranch_execz .LBB4_153
; %bb.151:                              ;   in Loop: Header=BB4_57 Depth=2
	s_trap 2
	ds_load_b64 v[12:13], v0
	v_add_nc_u32_e32 v9, v15, v9
	s_mov_b32 s19, 0
	s_delay_alu instid0(VALU_DEP_1)
	v_ashrrev_i32_e32 v15, 31, v9
.LBB4_152:                              ;   Parent Loop BB4_47 Depth=1
                                        ;     Parent Loop BB4_57 Depth=2
                                        ; =>    This Inner Loop Header: Depth=3
	s_wait_dscnt 0x0
	v_add_co_u32 v16, vcc_lo, v12, v9
	s_wait_alu 0xfffd
	s_delay_alu instid0(VALU_DEP_2)
	v_add_co_ci_u32_e64 v17, null, v13, v15, vcc_lo
	v_sub_nc_u32_e32 v14, v14, v112
	v_add_co_u32 v9, s13, v9, v112
	flat_load_u8 v18, v[16:17] th:TH_LOAD_NT
	s_wait_alu 0xf1ff
	v_add_co_ci_u32_e64 v15, null, 0, v15, s13
	v_cmp_gt_i32_e32 vcc_lo, 1, v14
	s_wait_alu 0xfffe
	s_or_b32 s19, vcc_lo, s19
	s_wait_loadcnt_dscnt 0x0
	flat_store_b8 v[16:17], v18 th:TH_STORE_NT
	s_wait_alu 0xfffe
	s_and_not1_b32 exec_lo, exec_lo, s19
	s_cbranch_execnz .LBB4_152
.LBB4_153:                              ;   in Loop: Header=BB4_57 Depth=2
	s_wait_alu 0xfffe
	s_or_b32 exec_lo, exec_lo, s14
	v_cmp_lt_i32_e64 s13, 0, v3
	s_and_saveexec_b32 s14, s2
	s_cbranch_execz .LBB4_128
.LBB4_154:                              ;   in Loop: Header=BB4_57 Depth=2
	s_and_saveexec_b32 s19, s3
	s_wait_alu 0xfffe
	s_xor_b32 s19, exec_lo, s19
	s_cbranch_execz .LBB4_169
; %bb.155:                              ;   in Loop: Header=BB4_57 Depth=2
	s_and_saveexec_b32 s20, s6
	s_cbranch_execz .LBB4_168
; %bb.156:                              ;   in Loop: Header=BB4_57 Depth=2
	s_mov_b32 s22, exec_lo
	s_mov_b32 s21, exec_lo
	s_wait_alu 0xfffe
	v_mbcnt_lo_u32_b32 v3, s22, 0
	s_wait_storecnt 0x0
	s_wait_loadcnt_dscnt 0x0
	global_inv scope:SCOPE_DEV
	v_cmpx_eq_u32_e32 0, v3
	s_cbranch_execz .LBB4_158
; %bb.157:                              ;   in Loop: Header=BB4_57 Depth=2
	s_bcnt1_i32_b32 s22, s22
	s_wait_alu 0xfffe
	v_dual_mov_b32 v13, v2 :: v_dual_mov_b32 v12, s22
	s_wait_loadcnt 0x0
	ds_add_u64 v0, v[12:13]
	s_trap 2
.LBB4_158:                              ;   in Loop: Header=BB4_57 Depth=2
	s_or_b32 exec_lo, exec_lo, s21
	s_trap 2
	ds_load_b64 v[12:13], v0
	s_wait_dscnt 0x0
	global_inv scope:SCOPE_SE
	v_add_co_u32 v38, vcc_lo, v38, v103
	s_wait_alu 0xfffd
	v_add_co_ci_u32_e64 v39, null, 0, v39, vcc_lo
	s_mov_b32 s21, exec_lo
	v_cmpx_lt_u64_e64 v[12:13], v[38:39]
	s_cbranch_execz .LBB4_167
; %bb.159:                              ;   in Loop: Header=BB4_57 Depth=2
	s_mov_b32 s22, 0
	s_mov_b32 s25, 0
                                        ; implicit-def: $sgpr23
                                        ; implicit-def: $sgpr24
	s_branch .LBB4_161
.LBB4_160:                              ;   in Loop: Header=BB4_161 Depth=3
	s_wait_alu 0xfffe
	s_or_b32 exec_lo, exec_lo, s27
	s_delay_alu instid0(SALU_CYCLE_1)
	s_and_b32 s26, exec_lo, s28
	s_wait_alu 0xfffe
	s_or_b32 s22, s26, s22
	s_and_not1_b32 s23, s23, exec_lo
	s_and_b32 s26, s24, exec_lo
	s_wait_alu 0xfffe
	s_or_b32 s23, s23, s26
	s_and_not1_b32 exec_lo, exec_lo, s22
	s_cbranch_execz .LBB4_165
.LBB4_161:                              ;   Parent Loop BB4_47 Depth=1
                                        ;     Parent Loop BB4_57 Depth=2
                                        ; =>    This Inner Loop Header: Depth=3
	s_wait_alu 0xfffe
	s_add_co_i32 s25, s25, 1
	s_wait_alu 0xfffe
	s_cmp_lg_u32 s25, 0x2710
	s_cselect_b32 s26, -1, 0
	s_wait_alu 0xfffe
	s_and_b32 vcc_lo, exec_lo, s26
	s_wait_alu 0xfffe
	s_cbranch_vccz .LBB4_163
; %bb.162:                              ;   in Loop: Header=BB4_161 Depth=3
	s_mov_b32 s28, -1
	s_or_b32 s24, s24, exec_lo
	s_and_saveexec_b32 s27, s26
	s_cbranch_execz .LBB4_160
	s_branch .LBB4_164
.LBB4_163:                              ;   in Loop: Header=BB4_161 Depth=3
	s_trap 2
	ds_load_b64 v[12:13], v0
	s_and_not1_b32 s26, s26, exec_lo
	s_mov_b32 s25, 0
	s_wait_loadcnt_dscnt 0x0
	flat_load_b32 v3, v[12:13] scope:SCOPE_SYS
	s_wait_loadcnt_dscnt 0x0
	global_inv scope:SCOPE_SYS
	v_cmp_eq_u32_e32 vcc_lo, 0, v3
	s_and_b32 s27, vcc_lo, exec_lo
	s_wait_alu 0xfffe
	s_or_b32 s26, s26, s27
	s_mov_b32 s28, -1
	s_or_b32 s24, s24, exec_lo
	s_wait_alu 0xfffe
	s_and_saveexec_b32 s27, s26
	s_cbranch_execz .LBB4_160
.LBB4_164:                              ;   in Loop: Header=BB4_161 Depth=3
	s_sleep 1
	s_trap 2
	ds_load_b64 v[12:13], v0
	s_wait_dscnt 0x0
	global_inv scope:SCOPE_SE
	s_wait_alu 0xfffe
	s_and_not1_b32 s24, s24, exec_lo
	v_cmp_ge_u64_e32 vcc_lo, v[12:13], v[38:39]
	s_or_not1_b32 s28, vcc_lo, exec_lo
	s_branch .LBB4_160
.LBB4_165:                              ;   in Loop: Header=BB4_57 Depth=2
	s_or_b32 exec_lo, exec_lo, s22
	s_wait_alu 0xfffe
	s_and_saveexec_b32 s22, s23
	s_wait_alu 0xfffe
	s_xor_b32 s22, exec_lo, s22
	s_cbranch_execz .LBB4_167
; %bb.166:                              ;   in Loop: Header=BB4_57 Depth=2
	ds_store_b32 v0, v113
	s_trap 2
.LBB4_167:                              ;   in Loop: Header=BB4_57 Depth=2
	s_wait_alu 0xfffe
	s_or_b32 exec_lo, exec_lo, s21
	;;#ASMSTART
	s_wakeup
	;;#ASMEND
.LBB4_168:                              ;   in Loop: Header=BB4_57 Depth=2
	s_wait_alu 0xfffe
	s_or_b32 exec_lo, exec_lo, s20
.LBB4_169:                              ;   in Loop: Header=BB4_57 Depth=2
	s_wait_alu 0xfffe
	s_and_not1_saveexec_b32 s19, s19
	s_cbranch_execz .LBB4_171
; %bb.170:                              ;   in Loop: Header=BB4_57 Depth=2
	s_wait_storecnt 0x0
	s_wait_loadcnt_dscnt 0x0
	global_inv scope:SCOPE_DEV
	s_barrier_signal -1
	s_barrier_wait -1
.LBB4_171:                              ;   in Loop: Header=BB4_57 Depth=2
	s_wait_alu 0xfffe
	s_or_b32 exec_lo, exec_lo, s19
	s_delay_alu instid0(SALU_CYCLE_1)
	s_or_b32 exec_lo, exec_lo, s14
                                        ; implicit-def: $vgpr3
	s_and_saveexec_b32 s14, s10
	s_wait_alu 0xfffe
	s_xor_b32 s14, exec_lo, s14
	s_cbranch_execnz .LBB4_129
.LBB4_172:                              ;   in Loop: Header=BB4_57 Depth=2
	s_wait_alu 0xfffe
	s_and_not1_saveexec_b32 s13, s14
	s_cbranch_execz .LBB4_191
.LBB4_173:                              ;   in Loop: Header=BB4_57 Depth=2
	s_and_saveexec_b32 s14, s3
	s_wait_alu 0xfffe
	s_xor_b32 s14, exec_lo, s14
	s_cbranch_execz .LBB4_188
; %bb.174:                              ;   in Loop: Header=BB4_57 Depth=2
	s_and_saveexec_b32 s19, s6
	s_cbranch_execz .LBB4_187
; %bb.175:                              ;   in Loop: Header=BB4_57 Depth=2
	s_mov_b32 s21, exec_lo
	s_mov_b32 s20, exec_lo
	s_wait_alu 0xfffe
	v_mbcnt_lo_u32_b32 v3, s21, 0
	;;#ASMSTART
	s_waitcnt lgkmcnt(0) vmcnt(0)
	;;#ASMEND
	s_delay_alu instid0(VALU_DEP_1)
	v_cmpx_eq_u32_e32 0, v3
	s_cbranch_execz .LBB4_177
; %bb.176:                              ;   in Loop: Header=BB4_57 Depth=2
	s_bcnt1_i32_b32 s21, s21
	s_wait_alu 0xfffe
	v_dual_mov_b32 v13, v2 :: v_dual_mov_b32 v12, s21
	s_wait_storecnt 0x0
	s_wait_loadcnt_dscnt 0x0
	ds_add_u64 v0, v[12:13]
	s_trap 2
.LBB4_177:                              ;   in Loop: Header=BB4_57 Depth=2
	s_or_b32 exec_lo, exec_lo, s20
	s_trap 2
	ds_load_b64 v[12:13], v0
	s_wait_dscnt 0x0
	global_inv scope:SCOPE_SE
	v_add_co_u32 v38, vcc_lo, v38, v103
	s_wait_alu 0xfffd
	v_add_co_ci_u32_e64 v39, null, 0, v39, vcc_lo
	s_mov_b32 s20, exec_lo
	v_cmpx_lt_u64_e64 v[12:13], v[38:39]
	s_cbranch_execz .LBB4_186
; %bb.178:                              ;   in Loop: Header=BB4_57 Depth=2
	s_mov_b32 s21, 0
	s_mov_b32 s24, 0
                                        ; implicit-def: $sgpr22
                                        ; implicit-def: $sgpr23
	s_branch .LBB4_180
.LBB4_179:                              ;   in Loop: Header=BB4_180 Depth=3
	s_wait_alu 0xfffe
	s_or_b32 exec_lo, exec_lo, s26
	s_delay_alu instid0(SALU_CYCLE_1)
	s_and_b32 s25, exec_lo, s27
	s_wait_alu 0xfffe
	s_or_b32 s21, s25, s21
	s_and_not1_b32 s22, s22, exec_lo
	s_and_b32 s25, s23, exec_lo
	s_wait_alu 0xfffe
	s_or_b32 s22, s22, s25
	s_and_not1_b32 exec_lo, exec_lo, s21
	s_cbranch_execz .LBB4_184
.LBB4_180:                              ;   Parent Loop BB4_47 Depth=1
                                        ;     Parent Loop BB4_57 Depth=2
                                        ; =>    This Inner Loop Header: Depth=3
	s_wait_alu 0xfffe
	s_add_co_i32 s24, s24, 1
	s_wait_alu 0xfffe
	s_cmp_lg_u32 s24, 0x2710
	s_cselect_b32 s25, -1, 0
	s_wait_alu 0xfffe
	s_and_b32 vcc_lo, exec_lo, s25
	s_wait_alu 0xfffe
	s_cbranch_vccz .LBB4_182
; %bb.181:                              ;   in Loop: Header=BB4_180 Depth=3
	s_mov_b32 s27, -1
	s_or_b32 s23, s23, exec_lo
	s_and_saveexec_b32 s26, s25
	s_cbranch_execz .LBB4_179
	s_branch .LBB4_183
.LBB4_182:                              ;   in Loop: Header=BB4_180 Depth=3
	s_trap 2
	ds_load_b64 v[12:13], v0
	s_and_not1_b32 s25, s25, exec_lo
	s_mov_b32 s24, 0
	s_wait_storecnt 0x0
	s_wait_loadcnt_dscnt 0x0
	flat_load_b32 v3, v[12:13] scope:SCOPE_SYS
	s_wait_loadcnt_dscnt 0x0
	global_inv scope:SCOPE_SYS
	v_cmp_eq_u32_e32 vcc_lo, 0, v3
	s_and_b32 s26, vcc_lo, exec_lo
	s_wait_alu 0xfffe
	s_or_b32 s25, s25, s26
	s_mov_b32 s27, -1
	s_or_b32 s23, s23, exec_lo
	s_wait_alu 0xfffe
	s_and_saveexec_b32 s26, s25
	s_cbranch_execz .LBB4_179
.LBB4_183:                              ;   in Loop: Header=BB4_180 Depth=3
	s_sleep 1
	s_trap 2
	ds_load_b64 v[12:13], v0
	s_wait_dscnt 0x0
	global_inv scope:SCOPE_SE
	s_wait_alu 0xfffe
	s_and_not1_b32 s23, s23, exec_lo
	v_cmp_ge_u64_e32 vcc_lo, v[12:13], v[38:39]
	s_or_not1_b32 s27, vcc_lo, exec_lo
	s_branch .LBB4_179
.LBB4_184:                              ;   in Loop: Header=BB4_57 Depth=2
	s_or_b32 exec_lo, exec_lo, s21
	s_wait_alu 0xfffe
	s_and_saveexec_b32 s21, s22
	s_wait_alu 0xfffe
	s_xor_b32 s21, exec_lo, s21
	s_cbranch_execz .LBB4_186
; %bb.185:                              ;   in Loop: Header=BB4_57 Depth=2
	ds_store_b32 v0, v113
	s_trap 2
.LBB4_186:                              ;   in Loop: Header=BB4_57 Depth=2
	s_wait_alu 0xfffe
	s_or_b32 exec_lo, exec_lo, s20
	;;#ASMSTART
	s_wakeup
	;;#ASMEND
.LBB4_187:                              ;   in Loop: Header=BB4_57 Depth=2
	s_wait_alu 0xfffe
	s_or_b32 exec_lo, exec_lo, s19
.LBB4_188:                              ;   in Loop: Header=BB4_57 Depth=2
	s_wait_alu 0xfffe
	s_and_not1_saveexec_b32 s14, s14
	s_cbranch_execz .LBB4_190
; %bb.189:                              ;   in Loop: Header=BB4_57 Depth=2
	;;#ASMSTART
	s_waitcnt lgkmcnt(0) vmcnt(0)
	;;#ASMEND
	s_barrier_signal -1
	s_barrier_wait -1
.LBB4_190:                              ;   in Loop: Header=BB4_57 Depth=2
	s_wait_alu 0xfffe
	s_or_b32 exec_lo, exec_lo, s14
	v_and_b32_e32 v3, 16, v30
.LBB4_191:                              ;   in Loop: Header=BB4_57 Depth=2
	s_wait_alu 0xfffe
	s_or_b32 exec_lo, exec_lo, s13
	s_delay_alu instid0(SALU_CYCLE_1) | instskip(NEXT) | instid1(VALU_DEP_1)
	s_mov_b32 s13, exec_lo
	v_cmpx_ne_u32_e32 0, v3
	s_cbranch_execz .LBB4_56
; %bb.192:                              ;   in Loop: Header=BB4_57 Depth=2
	s_and_saveexec_b32 s14, s5
	s_cbranch_execz .LBB4_55
; %bb.193:                              ;   in Loop: Header=BB4_57 Depth=2
	global_wb scope:SCOPE_SYS
	s_wait_storecnt 0x0
	s_wait_loadcnt_dscnt 0x0
	flat_store_b32 v[36:37], v113 scope:SCOPE_SYS
	s_branch .LBB4_55
.LBB4_194:                              ;   in Loop: Header=BB4_47 Depth=1
	s_or_b32 exec_lo, exec_lo, s16
.LBB4_195:                              ;   in Loop: Header=BB4_47 Depth=1
	s_wait_alu 0xfffe
	s_or_b32 exec_lo, exec_lo, s15
	s_delay_alu instid0(SALU_CYCLE_1)
	s_mov_b32 s14, exec_lo
	v_cmpx_gt_i32_e32 2, v3
	s_cbranch_execz .LBB4_267
; %bb.196:                              ;   in Loop: Header=BB4_47 Depth=1
	v_cmp_eq_u32_e64 s16, 0, v3
	s_mov_b32 s15, 0
	s_branch .LBB4_199
.LBB4_197:                              ;   in Loop: Header=BB4_199 Depth=2
	s_wait_alu 0xfffe
	s_or_b32 exec_lo, exec_lo, s16
	v_add_co_u32 v64, vcc_lo, v64, 2
	s_wait_alu 0xfffd
	v_add_co_ci_u32_e64 v65, null, 0, v65, vcc_lo
	global_wb scope:SCOPE_SYS
	s_wait_storecnt 0x0
	s_wait_loadcnt_dscnt 0x0
	flat_store_b64 v[32:33], v[64:65] scope:SCOPE_SYS
.LBB4_198:                              ;   in Loop: Header=BB4_199 Depth=2
	s_wait_alu 0xfffe
	s_or_b32 exec_lo, exec_lo, s13
	v_add_nc_u32_e32 v21, v8, v21
	s_mov_b32 s16, 0
	s_and_not1_b32 exec_lo, exec_lo, s15
	s_cbranch_execz .LBB4_266
.LBB4_199:                              ;   Parent Loop BB4_47 Depth=1
                                        ; =>  This Loop Header: Depth=2
                                        ;       Child Loop BB4_205 Depth 3
                                        ;       Child Loop BB4_229 Depth 3
	;; [unrolled: 1-line block ×3, first 2 shown]
	s_delay_alu instid0(VALU_DEP_1) | instskip(SKIP_2) | instid1(VALU_DEP_2)
	v_sub_nc_u32_e32 v3, v20, v21
	v_and_b32_e32 v9, 8, v30
	s_mov_b32 s17, exec_lo
	v_min_i32_e32 v8, v8, v3
	s_delay_alu instid0(VALU_DEP_2)
	v_cmpx_ne_u32_e32 0, v9
	s_cbranch_execz .LBB4_221
; %bb.200:                              ;   in Loop: Header=BB4_199 Depth=2
	v_add_co_u32 v12, vcc_lo, v48, 8
	s_wait_alu 0xfffd
	v_add_co_ci_u32_e64 v13, null, 0, v49, vcc_lo
	v_add_co_u32 v10, vcc_lo, v64, 2
	s_wait_alu 0xfffd
	v_add_co_ci_u32_e64 v11, null, 0, v65, vcc_lo
	s_mov_b32 s18, exec_lo
	v_cmpx_lt_u64_e64 v[12:13], v[10:11]
	s_cbranch_execz .LBB4_212
; %bb.201:                              ;   in Loop: Header=BB4_199 Depth=2
	v_and_b32_e32 v3, 64, v30
	s_mov_b32 s19, 0
	s_mov_b32 s23, 0
                                        ; implicit-def: $sgpr20
                                        ; implicit-def: $sgpr21
                                        ; implicit-def: $sgpr22
	s_delay_alu instid0(VALU_DEP_1)
	v_cmp_eq_u32_e32 vcc_lo, 0, v3
	s_branch .LBB4_205
.LBB4_202:                              ;   in Loop: Header=BB4_205 Depth=3
	v_add_co_u32 v12, s13, v48, 8
	s_wait_alu 0xf1ff
	v_add_co_ci_u32_e64 v13, null, 0, v49, s13
	s_or_b32 s26, s26, exec_lo
	v_cmp_ge_u64_e64 s13, v[12:13], v[10:11]
	s_or_not1_b32 s25, s13, exec_lo
.LBB4_203:                              ;   in Loop: Header=BB4_205 Depth=3
	s_wait_alu 0xfffe
	s_or_b32 exec_lo, exec_lo, s28
	s_delay_alu instid0(SALU_CYCLE_1)
	s_and_not1_b32 s13, s22, exec_lo
	s_and_b32 s22, s26, exec_lo
	s_and_not1_b32 s21, s21, exec_lo
	s_and_b32 s25, s25, exec_lo
	s_wait_alu 0xfffe
	s_or_b32 s22, s13, s22
	s_or_b32 s21, s21, s25
.LBB4_204:                              ;   in Loop: Header=BB4_205 Depth=3
	s_wait_alu 0xfffe
	s_or_b32 exec_lo, exec_lo, s24
	s_delay_alu instid0(SALU_CYCLE_1)
	s_and_b32 s13, exec_lo, s21
	s_wait_alu 0xfffe
	s_or_b32 s19, s13, s19
	s_and_not1_b32 s13, s20, exec_lo
	s_and_b32 s20, s22, exec_lo
	s_wait_alu 0xfffe
	s_or_b32 s20, s13, s20
	s_and_not1_b32 exec_lo, exec_lo, s19
	s_cbranch_execz .LBB4_209
.LBB4_205:                              ;   Parent Loop BB4_47 Depth=1
                                        ;     Parent Loop BB4_199 Depth=2
                                        ; =>    This Inner Loop Header: Depth=3
	s_sleep 1
	flat_load_b64 v[48:49], v[32:33] scope:SCOPE_SYS
	s_wait_loadcnt_dscnt 0x0
	global_inv scope:SCOPE_SYS
	s_or_b32 s22, s22, exec_lo
	s_or_b32 s21, s21, exec_lo
                                        ; implicit-def: $vgpr3
	s_and_saveexec_b32 s24, vcc_lo
	s_cbranch_execz .LBB4_204
; %bb.206:                              ;   in Loop: Header=BB4_205 Depth=3
	s_wait_alu 0xfffe
	s_cmp_lt_i32 s23, 0x270f
	s_mov_b32 s25, -1
	s_cselect_b32 s27, -1, 0
	s_cmp_gt_i32 s23, 0x270e
	s_cbranch_scc0 .LBB4_208
; %bb.207:                              ;   in Loop: Header=BB4_205 Depth=3
	s_trap 2
	ds_load_b64 v[12:13], v0
	s_wait_alu 0xfffe
	s_and_not1_b32 s23, s27, exec_lo
	s_mov_b32 s26, 0
	s_wait_storecnt 0x0
	s_wait_loadcnt_dscnt 0x0
	flat_load_b32 v3, v[12:13] scope:SCOPE_SYS
	s_wait_loadcnt_dscnt 0x0
	global_inv scope:SCOPE_SYS
	v_cmp_eq_u32_e64 s13, 0, v3
	s_and_b32 s13, s13, exec_lo
	s_wait_alu 0xfffe
	s_or_b32 s27, s23, s13
	s_mov_b32 s23, 0
	s_wait_alu 0xfffe
	s_and_saveexec_b32 s28, s27
	s_cbranch_execz .LBB4_203
	s_branch .LBB4_202
.LBB4_208:                              ;   in Loop: Header=BB4_205 Depth=3
	s_add_co_i32 s23, s23, 1
	s_mov_b32 s26, -1
                                        ; implicit-def: $vgpr3
	s_wait_alu 0xfffe
	s_and_saveexec_b32 s28, s27
	s_cbranch_execz .LBB4_203
	s_branch .LBB4_202
.LBB4_209:                              ;   in Loop: Header=BB4_199 Depth=2
	s_or_b32 exec_lo, exec_lo, s19
	s_wait_alu 0xfffe
	s_xor_b32 s13, s20, -1
	s_wait_alu 0xfffe
	s_and_saveexec_b32 s19, s13
	s_wait_alu 0xfffe
	s_xor_b32 s13, exec_lo, s19
	s_cbranch_execz .LBB4_211
; %bb.210:                              ;   in Loop: Header=BB4_199 Depth=2
	v_or_b32_e32 v30, 64, v30
	s_wait_loadcnt 0x0
	s_wait_storecnt 0x0
	ds_store_b32 v0, v3
	s_trap 2
.LBB4_211:                              ;   in Loop: Header=BB4_199 Depth=2
	s_wait_alu 0xfffe
	s_or_b32 exec_lo, exec_lo, s13
.LBB4_212:                              ;   in Loop: Header=BB4_199 Depth=2
	s_wait_alu 0xfffe
	s_or_b32 exec_lo, exec_lo, s18
	v_and_b32_e32 v3, 0x100, v30
	s_mov_b32 s13, -1
	;;#ASMSTART
	s_wakeup
	;;#ASMEND
                                        ; implicit-def: $vgpr12_vgpr13
	s_delay_alu instid0(VALU_DEP_1)
	v_cmp_ne_u32_e32 vcc_lo, 0, v3
	v_and_b32_e32 v3, 7, v64
	s_and_saveexec_b32 s18, vcc_lo
	s_cbranch_execz .LBB4_216
; %bb.213:                              ;   in Loop: Header=BB4_199 Depth=2
	s_delay_alu instid0(VALU_DEP_1)
	v_mad_co_u64_u32 v[14:15], null, v3, 24, v[6:7]
	v_ashrrev_i32_e32 v9, 31, v8
	flat_load_b32 v12, v[14:15]
	flat_store_b64 v[14:15], v[8:9] offset:8
	s_wait_loadcnt_dscnt 0x1
	v_cmp_eq_u32_e64 s13, 1, v12
	v_cmp_ne_u32_e32 vcc_lo, 1, v12
                                        ; implicit-def: $vgpr12_vgpr13
	s_wait_alu 0xfffe
	s_and_saveexec_b32 s19, s13
	s_cbranch_execz .LBB4_215
; %bb.214:                              ;   in Loop: Header=BB4_199 Depth=2
	flat_load_b32 v12, v[14:15] offset:4 scope:SCOPE_SYS
	s_wait_loadcnt_dscnt 0x0
	v_ashrrev_i32_e32 v13, 31, v12
.LBB4_215:                              ;   in Loop: Header=BB4_199 Depth=2
	s_wait_alu 0xfffe
	s_or_b32 exec_lo, exec_lo, s19
	s_delay_alu instid0(SALU_CYCLE_1)
	s_or_not1_b32 s13, vcc_lo, exec_lo
.LBB4_216:                              ;   in Loop: Header=BB4_199 Depth=2
	s_wait_alu 0xfffe
	s_or_b32 exec_lo, exec_lo, s18
	s_and_saveexec_b32 s18, s13
; %bb.217:                              ;   in Loop: Header=BB4_199 Depth=2
	v_mad_co_i64_i32 v[12:13], null, v3, v100, 0
; %bb.218:                              ;   in Loop: Header=BB4_199 Depth=2
	s_wait_alu 0xfffe
	s_or_b32 exec_lo, exec_lo, s18
	s_delay_alu instid0(VALU_DEP_1) | instskip(SKIP_2) | instid1(VALU_DEP_3)
	v_add_co_u32 v12, vcc_lo, v34, v12
	v_and_b32_e32 v3, 0x2000, v30
	s_wait_alu 0xfffd
	v_add_co_ci_u32_e64 v13, null, v35, v13, vcc_lo
	s_mov_b32 s13, exec_lo
	ds_store_b64 v0, v[12:13] offset:784
	v_cmpx_ne_u32_e32 0, v3
	s_cbranch_execz .LBB4_220
; %bb.219:                              ;   in Loop: Header=BB4_199 Depth=2
	ds_load_b64 v[12:13], v0 offset:872
	s_wait_dscnt 0x0
	v_add_co_u32 v12, vcc_lo, v12, 1
	s_wait_alu 0xfffd
	v_add_co_ci_u32_e64 v13, null, 0, v13, vcc_lo
	ds_store_b64 v0, v[12:13] offset:872
.LBB4_220:                              ;   in Loop: Header=BB4_199 Depth=2
	s_wait_alu 0xfffe
	s_or_b32 exec_lo, exec_lo, s13
	v_dual_mov_b32 v65, v11 :: v_dual_mov_b32 v64, v10
.LBB4_221:                              ;   in Loop: Header=BB4_199 Depth=2
	s_wait_alu 0xfffe
	s_or_b32 exec_lo, exec_lo, s17
	s_xor_b32 s13, s16, -1
	s_wait_alu 0xfffe
	s_and_b32 s13, exec_lo, s13
	s_wait_alu 0xfffe
	s_or_b32 s15, s13, s15
	s_and_saveexec_b32 s13, s2
	s_cbranch_execz .LBB4_240
; %bb.222:                              ;   in Loop: Header=BB4_199 Depth=2
	s_and_saveexec_b32 s16, s3
	s_wait_alu 0xfffe
	s_xor_b32 s16, exec_lo, s16
	s_cbranch_execz .LBB4_237
; %bb.223:                              ;   in Loop: Header=BB4_199 Depth=2
	s_and_saveexec_b32 s17, s6
	s_cbranch_execz .LBB4_236
; %bb.224:                              ;   in Loop: Header=BB4_199 Depth=2
	s_mov_b32 s19, exec_lo
	s_mov_b32 s18, exec_lo
	s_wait_alu 0xfffe
	v_mbcnt_lo_u32_b32 v3, s19, 0
	s_wait_storecnt 0x0
	s_wait_loadcnt_dscnt 0x0
	global_inv scope:SCOPE_DEV
	v_cmpx_eq_u32_e32 0, v3
	s_cbranch_execz .LBB4_226
; %bb.225:                              ;   in Loop: Header=BB4_199 Depth=2
	s_bcnt1_i32_b32 s19, s19
	s_wait_alu 0xfffe
	v_dual_mov_b32 v10, v2 :: v_dual_mov_b32 v9, s19
	s_wait_loadcnt 0x0
	ds_add_u64 v0, v[9:10]
	s_trap 2
.LBB4_226:                              ;   in Loop: Header=BB4_199 Depth=2
	s_or_b32 exec_lo, exec_lo, s18
	s_trap 2
	ds_load_b64 v[9:10], v0
	s_wait_dscnt 0x0
	global_inv scope:SCOPE_SE
	v_add_co_u32 v38, vcc_lo, v38, v103
	s_wait_alu 0xfffd
	v_add_co_ci_u32_e64 v39, null, 0, v39, vcc_lo
	s_mov_b32 s18, exec_lo
	v_cmpx_lt_u64_e64 v[9:10], v[38:39]
	s_cbranch_execz .LBB4_235
; %bb.227:                              ;   in Loop: Header=BB4_199 Depth=2
	s_mov_b32 s19, 0
	s_mov_b32 s22, 0
                                        ; implicit-def: $sgpr20
                                        ; implicit-def: $sgpr21
	s_branch .LBB4_229
.LBB4_228:                              ;   in Loop: Header=BB4_229 Depth=3
	s_wait_alu 0xfffe
	s_or_b32 exec_lo, exec_lo, s24
	s_delay_alu instid0(SALU_CYCLE_1)
	s_and_b32 s23, exec_lo, s25
	s_wait_alu 0xfffe
	s_or_b32 s19, s23, s19
	s_and_not1_b32 s20, s20, exec_lo
	s_and_b32 s23, s21, exec_lo
	s_wait_alu 0xfffe
	s_or_b32 s20, s20, s23
	s_and_not1_b32 exec_lo, exec_lo, s19
	s_cbranch_execz .LBB4_233
.LBB4_229:                              ;   Parent Loop BB4_47 Depth=1
                                        ;     Parent Loop BB4_199 Depth=2
                                        ; =>    This Inner Loop Header: Depth=3
	s_wait_alu 0xfffe
	s_add_co_i32 s22, s22, 1
	s_wait_alu 0xfffe
	s_cmp_lg_u32 s22, 0x2710
	s_cselect_b32 s23, -1, 0
	s_wait_alu 0xfffe
	s_and_b32 vcc_lo, exec_lo, s23
	s_wait_alu 0xfffe
	s_cbranch_vccz .LBB4_231
; %bb.230:                              ;   in Loop: Header=BB4_229 Depth=3
	s_mov_b32 s25, -1
	s_or_b32 s21, s21, exec_lo
	s_and_saveexec_b32 s24, s23
	s_cbranch_execz .LBB4_228
	s_branch .LBB4_232
.LBB4_231:                              ;   in Loop: Header=BB4_229 Depth=3
	s_trap 2
	ds_load_b64 v[9:10], v0
	s_and_not1_b32 s23, s23, exec_lo
	s_mov_b32 s22, 0
	s_wait_loadcnt_dscnt 0x0
	flat_load_b32 v3, v[9:10] scope:SCOPE_SYS
	s_wait_loadcnt_dscnt 0x0
	global_inv scope:SCOPE_SYS
	v_cmp_eq_u32_e32 vcc_lo, 0, v3
	s_and_b32 s24, vcc_lo, exec_lo
	s_wait_alu 0xfffe
	s_or_b32 s23, s23, s24
	s_mov_b32 s25, -1
	s_or_b32 s21, s21, exec_lo
	s_wait_alu 0xfffe
	s_and_saveexec_b32 s24, s23
	s_cbranch_execz .LBB4_228
.LBB4_232:                              ;   in Loop: Header=BB4_229 Depth=3
	s_sleep 1
	s_trap 2
	ds_load_b64 v[9:10], v0
	s_wait_dscnt 0x0
	global_inv scope:SCOPE_SE
	s_wait_alu 0xfffe
	s_and_not1_b32 s21, s21, exec_lo
	v_cmp_ge_u64_e32 vcc_lo, v[9:10], v[38:39]
	s_or_not1_b32 s25, vcc_lo, exec_lo
	s_branch .LBB4_228
.LBB4_233:                              ;   in Loop: Header=BB4_199 Depth=2
	s_or_b32 exec_lo, exec_lo, s19
	s_wait_alu 0xfffe
	s_and_saveexec_b32 s19, s20
	s_wait_alu 0xfffe
	s_xor_b32 s19, exec_lo, s19
	s_cbranch_execz .LBB4_235
; %bb.234:                              ;   in Loop: Header=BB4_199 Depth=2
	ds_store_b32 v0, v113
	s_trap 2
.LBB4_235:                              ;   in Loop: Header=BB4_199 Depth=2
	s_wait_alu 0xfffe
	s_or_b32 exec_lo, exec_lo, s18
	;;#ASMSTART
	s_wakeup
	;;#ASMEND
.LBB4_236:                              ;   in Loop: Header=BB4_199 Depth=2
	s_wait_alu 0xfffe
	s_or_b32 exec_lo, exec_lo, s17
.LBB4_237:                              ;   in Loop: Header=BB4_199 Depth=2
	s_wait_alu 0xfffe
	s_and_not1_saveexec_b32 s16, s16
	s_cbranch_execz .LBB4_239
; %bb.238:                              ;   in Loop: Header=BB4_199 Depth=2
	s_wait_storecnt 0x0
	s_wait_loadcnt_dscnt 0x0
	global_inv scope:SCOPE_DEV
	s_barrier_signal -1
	s_barrier_wait -1
.LBB4_239:                              ;   in Loop: Header=BB4_199 Depth=2
	s_wait_alu 0xfffe
	s_or_b32 exec_lo, exec_lo, s16
.LBB4_240:                              ;   in Loop: Header=BB4_199 Depth=2
	s_wait_alu 0xfffe
	s_or_b32 exec_lo, exec_lo, s13
                                        ; implicit-def: $vgpr3
	s_and_saveexec_b32 s13, s10
	s_wait_alu 0xfffe
	s_xor_b32 s16, exec_lo, s13
	s_cbranch_execz .LBB4_244
; %bb.241:                              ;   in Loop: Header=BB4_199 Depth=2
	s_trap 2
	ds_load_b32 v3, v0
	v_cmp_lt_i32_e32 vcc_lo, 0, v8
	s_wait_dscnt 0x0
	v_readfirstlane_b32 s13, v3
	v_and_b32_e32 v3, 16, v30
	s_cmp_eq_u32 s13, 0
	s_delay_alu instid0(VALU_DEP_1)
	v_cmp_ne_u32_e64 s13, 0, v3
	s_cselect_b32 s17, -1, 0
	v_and_b32_e32 v3, 16, v30
	s_wait_alu 0xfffe
	s_and_b32 s17, vcc_lo, s17
	s_wait_alu 0xfffe
	s_and_b32 s17, s13, s17
	s_wait_alu 0xfffe
	s_and_saveexec_b32 s13, s17
	s_cbranch_execz .LBB4_243
; %bb.242:                              ;   in Loop: Header=BB4_199 Depth=2
	v_mov_b32_e32 v3, 1
	global_wb scope:SCOPE_SYS
	s_wait_loadcnt 0x0
	s_wait_storecnt 0x0
	global_inv scope:SCOPE_SYS
.LBB4_243:                              ;   in Loop: Header=BB4_199 Depth=2
	s_wait_alu 0xfffe
	s_or_b32 exec_lo, exec_lo, s13
	s_and_not1_saveexec_b32 s13, s16
	s_cbranch_execz .LBB4_263
	s_branch .LBB4_245
.LBB4_244:                              ;   in Loop: Header=BB4_199 Depth=2
	s_wait_alu 0xfffe
	s_and_not1_saveexec_b32 s13, s16
	s_cbranch_execz .LBB4_263
.LBB4_245:                              ;   in Loop: Header=BB4_199 Depth=2
	s_and_saveexec_b32 s16, s3
	s_wait_alu 0xfffe
	s_xor_b32 s16, exec_lo, s16
	s_cbranch_execz .LBB4_260
; %bb.246:                              ;   in Loop: Header=BB4_199 Depth=2
	s_and_saveexec_b32 s17, s6
	s_cbranch_execz .LBB4_259
; %bb.247:                              ;   in Loop: Header=BB4_199 Depth=2
	s_mov_b32 s19, exec_lo
	s_mov_b32 s18, exec_lo
	s_wait_alu 0xfffe
	v_mbcnt_lo_u32_b32 v3, s19, 0
	;;#ASMSTART
	s_waitcnt lgkmcnt(0) vmcnt(0)
	;;#ASMEND
	s_delay_alu instid0(VALU_DEP_1)
	v_cmpx_eq_u32_e32 0, v3
	s_cbranch_execz .LBB4_249
; %bb.248:                              ;   in Loop: Header=BB4_199 Depth=2
	s_bcnt1_i32_b32 s19, s19
	s_wait_alu 0xfffe
	v_dual_mov_b32 v10, v2 :: v_dual_mov_b32 v9, s19
	s_wait_storecnt 0x0
	s_wait_loadcnt_dscnt 0x0
	ds_add_u64 v0, v[9:10]
	s_trap 2
.LBB4_249:                              ;   in Loop: Header=BB4_199 Depth=2
	s_or_b32 exec_lo, exec_lo, s18
	s_trap 2
	ds_load_b64 v[9:10], v0
	s_wait_dscnt 0x0
	global_inv scope:SCOPE_SE
	v_add_co_u32 v38, vcc_lo, v38, v103
	s_wait_alu 0xfffd
	v_add_co_ci_u32_e64 v39, null, 0, v39, vcc_lo
	s_mov_b32 s18, exec_lo
	v_cmpx_lt_u64_e64 v[9:10], v[38:39]
	s_cbranch_execz .LBB4_258
; %bb.250:                              ;   in Loop: Header=BB4_199 Depth=2
	s_mov_b32 s19, 0
	s_mov_b32 s22, 0
                                        ; implicit-def: $sgpr20
                                        ; implicit-def: $sgpr21
	s_branch .LBB4_252
.LBB4_251:                              ;   in Loop: Header=BB4_252 Depth=3
	s_wait_alu 0xfffe
	s_or_b32 exec_lo, exec_lo, s24
	s_delay_alu instid0(SALU_CYCLE_1)
	s_and_b32 s23, exec_lo, s25
	s_wait_alu 0xfffe
	s_or_b32 s19, s23, s19
	s_and_not1_b32 s20, s20, exec_lo
	s_and_b32 s23, s21, exec_lo
	s_wait_alu 0xfffe
	s_or_b32 s20, s20, s23
	s_and_not1_b32 exec_lo, exec_lo, s19
	s_cbranch_execz .LBB4_256
.LBB4_252:                              ;   Parent Loop BB4_47 Depth=1
                                        ;     Parent Loop BB4_199 Depth=2
                                        ; =>    This Inner Loop Header: Depth=3
	s_wait_alu 0xfffe
	s_add_co_i32 s22, s22, 1
	s_wait_alu 0xfffe
	s_cmp_lg_u32 s22, 0x2710
	s_cselect_b32 s23, -1, 0
	s_wait_alu 0xfffe
	s_and_b32 vcc_lo, exec_lo, s23
	s_wait_alu 0xfffe
	s_cbranch_vccz .LBB4_254
; %bb.253:                              ;   in Loop: Header=BB4_252 Depth=3
	s_mov_b32 s25, -1
	s_or_b32 s21, s21, exec_lo
	s_and_saveexec_b32 s24, s23
	s_cbranch_execz .LBB4_251
	s_branch .LBB4_255
.LBB4_254:                              ;   in Loop: Header=BB4_252 Depth=3
	s_trap 2
	ds_load_b64 v[9:10], v0
	s_and_not1_b32 s23, s23, exec_lo
	s_mov_b32 s22, 0
	s_wait_storecnt 0x0
	s_wait_loadcnt_dscnt 0x0
	flat_load_b32 v3, v[9:10] scope:SCOPE_SYS
	s_wait_loadcnt_dscnt 0x0
	global_inv scope:SCOPE_SYS
	v_cmp_eq_u32_e32 vcc_lo, 0, v3
	s_and_b32 s24, vcc_lo, exec_lo
	s_wait_alu 0xfffe
	s_or_b32 s23, s23, s24
	s_mov_b32 s25, -1
	s_or_b32 s21, s21, exec_lo
	s_wait_alu 0xfffe
	s_and_saveexec_b32 s24, s23
	s_cbranch_execz .LBB4_251
.LBB4_255:                              ;   in Loop: Header=BB4_252 Depth=3
	s_sleep 1
	s_trap 2
	ds_load_b64 v[9:10], v0
	s_wait_dscnt 0x0
	global_inv scope:SCOPE_SE
	s_wait_alu 0xfffe
	s_and_not1_b32 s21, s21, exec_lo
	v_cmp_ge_u64_e32 vcc_lo, v[9:10], v[38:39]
	s_or_not1_b32 s25, vcc_lo, exec_lo
	s_branch .LBB4_251
.LBB4_256:                              ;   in Loop: Header=BB4_199 Depth=2
	s_or_b32 exec_lo, exec_lo, s19
	s_wait_alu 0xfffe
	s_and_saveexec_b32 s19, s20
	s_wait_alu 0xfffe
	s_xor_b32 s19, exec_lo, s19
	s_cbranch_execz .LBB4_258
; %bb.257:                              ;   in Loop: Header=BB4_199 Depth=2
	ds_store_b32 v0, v113
	s_trap 2
.LBB4_258:                              ;   in Loop: Header=BB4_199 Depth=2
	s_wait_alu 0xfffe
	s_or_b32 exec_lo, exec_lo, s18
	;;#ASMSTART
	s_wakeup
	;;#ASMEND
.LBB4_259:                              ;   in Loop: Header=BB4_199 Depth=2
	s_wait_alu 0xfffe
	s_or_b32 exec_lo, exec_lo, s17
.LBB4_260:                              ;   in Loop: Header=BB4_199 Depth=2
	s_wait_alu 0xfffe
	s_and_not1_saveexec_b32 s16, s16
	s_cbranch_execz .LBB4_262
; %bb.261:                              ;   in Loop: Header=BB4_199 Depth=2
	;;#ASMSTART
	s_waitcnt lgkmcnt(0) vmcnt(0)
	;;#ASMEND
	s_barrier_signal -1
	s_barrier_wait -1
.LBB4_262:                              ;   in Loop: Header=BB4_199 Depth=2
	s_wait_alu 0xfffe
	s_or_b32 exec_lo, exec_lo, s16
	v_and_b32_e32 v3, 16, v30
.LBB4_263:                              ;   in Loop: Header=BB4_199 Depth=2
	s_wait_alu 0xfffe
	s_or_b32 exec_lo, exec_lo, s13
	s_delay_alu instid0(SALU_CYCLE_1) | instskip(NEXT) | instid1(VALU_DEP_1)
	s_mov_b32 s13, exec_lo
	v_cmpx_ne_u32_e32 0, v3
	s_cbranch_execz .LBB4_198
; %bb.264:                              ;   in Loop: Header=BB4_199 Depth=2
	s_and_saveexec_b32 s16, s5
	s_cbranch_execz .LBB4_197
; %bb.265:                              ;   in Loop: Header=BB4_199 Depth=2
	global_wb scope:SCOPE_SYS
	s_wait_storecnt 0x0
	s_wait_loadcnt_dscnt 0x0
	flat_store_b32 v[36:37], v113 scope:SCOPE_SYS
	s_branch .LBB4_197
.LBB4_266:                              ;   in Loop: Header=BB4_47 Depth=1
	s_or_b32 exec_lo, exec_lo, s15
.LBB4_267:                              ;   in Loop: Header=BB4_47 Depth=1
	s_wait_alu 0xfffe
	s_or_b32 exec_lo, exec_lo, s14
	s_delay_alu instid0(SALU_CYCLE_1)
	s_and_not1_b32 vcc_lo, exec_lo, s93
	s_wait_alu 0xfffe
	s_cbranch_vccnz .LBB4_492
; %bb.268:                              ;   in Loop: Header=BB4_47 Depth=1
	s_mov_b32 s77, 2
	s_branch .LBB4_271
.LBB4_269:                              ;   in Loop: Header=BB4_271 Depth=2
	s_or_b32 exec_lo, exec_lo, s15
.LBB4_270:                              ;   in Loop: Header=BB4_271 Depth=2
	s_wait_alu 0xfffe
	s_or_b32 exec_lo, exec_lo, s14
	s_add_co_i32 s77, s77, 1
	s_wait_alu 0xfffe
	s_cmp_eq_u32 s77, s72
	s_cbranch_scc1 .LBB4_492
.LBB4_271:                              ;   Parent Loop BB4_47 Depth=1
                                        ; =>  This Loop Header: Depth=2
                                        ;       Child Loop BB4_274 Depth 3
                                        ;         Child Loop BB4_282 Depth 4
                                        ;         Child Loop BB4_310 Depth 4
	;; [unrolled: 1-line block ×9, first 2 shown]
                                        ;       Child Loop BB4_420 Depth 3
                                        ;         Child Loop BB4_426 Depth 4
                                        ;         Child Loop BB4_454 Depth 4
	;; [unrolled: 1-line block ×3, first 2 shown]
	s_wait_alu 0xfffe
	s_sub_co_i32 s13, s88, s77
	v_mov_b32_e32 v99, 0
	s_wait_alu 0xfffe
	s_cmp_ge_i32 s13, s72
	s_mov_b32 s37, 0
	s_cselect_b32 s14, s72, 0
	s_wait_alu 0xfffe
	s_sub_co_i32 s13, s13, s14
	s_wait_alu 0xfffe
	s_ashr_i32 s14, s13, 31
	v_mul_lo_u32 v3, v55, s13
	v_mad_co_u64_u32 v[70:71], null, v54, s13, 0
	s_wait_alu 0xfffe
	v_mul_lo_u32 v8, v54, s14
	s_delay_alu instid0(VALU_DEP_1) | instskip(NEXT) | instid1(VALU_DEP_3)
	v_add3_u32 v71, v71, v8, v3
	v_sub_co_u32 v8, vcc_lo, v66, v70
	s_wait_alu 0xfffd
	s_delay_alu instid0(VALU_DEP_2) | instskip(NEXT) | instid1(VALU_DEP_1)
	v_sub_co_ci_u32_e64 v9, null, v67, v71, vcc_lo
	v_cmp_lt_i64_e32 vcc_lo, v[54:55], v[8:9]
	s_wait_alu 0xfffd
	v_cndmask_b32_e32 v8, v8, v54, vcc_lo
	s_delay_alu instid0(VALU_DEP_1) | instskip(NEXT) | instid1(VALU_DEP_1)
	v_max_i32_e32 v98, 0, v8
	v_add_nc_u32_e32 v3, 31, v98
	s_delay_alu instid0(VALU_DEP_1) | instskip(NEXT) | instid1(VALU_DEP_1)
	v_lshrrev_b32_e32 v3, 1, v3
	v_and_b32_e32 v9, 0x3ffffff0, v3
	v_cmp_lt_i32_e32 vcc_lo, 0, v8
	v_mov_b32_e32 v3, 0
	s_delay_alu instid0(VALU_DEP_3)
	v_max_i32_e32 v68, s92, v9
	s_and_b32 s13, vcc_hi, vcc_lo
	s_wait_alu 0xfffe
	s_and_saveexec_b32 s36, s13
	s_cbranch_execz .LBB4_417
; %bb.272:                              ;   in Loop: Header=BB4_271 Depth=2
	v_mov_b32_e32 v99, 0
	s_mov_b32 s39, 1
	s_mov_b32 s38, -1
	s_branch .LBB4_274
.LBB4_273:                              ;   in Loop: Header=BB4_274 Depth=3
	s_wait_alu 0xfffe
	s_or_b32 exec_lo, exec_lo, s13
	v_add_nc_u32_e32 v99, v68, v99
	s_xor_b32 s13, s38, -1
	v_mov_b32_e32 v3, s39
	s_mov_b32 s38, 0
	s_mov_b32 s39, 2
	v_cmp_ge_i32_e32 vcc_lo, v99, v98
	s_wait_alu 0xfffe
	s_or_b32 s13, s13, vcc_lo
	s_wait_alu 0xfffe
	s_and_b32 s13, exec_lo, s13
	s_wait_alu 0xfffe
	s_or_b32 s37, s13, s37
	s_wait_alu 0xfffe
	s_and_not1_b32 exec_lo, exec_lo, s37
	s_cbranch_execz .LBB4_416
.LBB4_274:                              ;   Parent Loop BB4_47 Depth=1
                                        ;     Parent Loop BB4_271 Depth=2
                                        ; =>    This Loop Header: Depth=3
                                        ;         Child Loop BB4_282 Depth 4
                                        ;         Child Loop BB4_310 Depth 4
	;; [unrolled: 1-line block ×9, first 2 shown]
	s_and_saveexec_b32 s13, s0
	s_cbranch_execz .LBB4_276
; %bb.275:                              ;   in Loop: Header=BB4_274 Depth=3
	s_trap 2
	ds_load_b64 v[8:9], v0
	s_wait_dscnt 0x0
	v_add_co_u32 v3, vcc_lo, v8, v149
	s_wait_alu 0xfffd
	v_add_co_ci_u32_e64 v8, null, v9, v150, vcc_lo
	v_ashrrev_i32_e32 v9, 31, v99
	s_delay_alu instid0(VALU_DEP_3) | instskip(SKIP_1) | instid1(VALU_DEP_3)
	v_add_co_u32 v3, vcc_lo, v3, v70
	s_wait_alu 0xfffd
	v_add_co_ci_u32_e64 v10, null, v8, v71, vcc_lo
	s_delay_alu instid0(VALU_DEP_2) | instskip(SKIP_1) | instid1(VALU_DEP_2)
	v_add_co_u32 v8, vcc_lo, v3, v99
	s_wait_alu 0xfffd
	v_add_co_ci_u32_e64 v9, null, v10, v9, vcc_lo
	v_mov_b32_e32 v3, v2
	ds_store_b64 v0, v[8:9]
	ds_store_b64 v0, v[2:3]
.LBB4_276:                              ;   in Loop: Header=BB4_274 Depth=3
	s_wait_alu 0xfffe
	s_or_b32 exec_lo, exec_lo, s13
	v_sub_nc_u32_e32 v3, v98, v99
	v_and_b32_e32 v8, 12, v30
	s_mov_b32 s14, exec_lo
	s_delay_alu instid0(VALU_DEP_2) | instskip(NEXT) | instid1(VALU_DEP_2)
	v_min_i32_e32 v68, v68, v3
	v_cmpx_ne_u32_e32 0, v8
	s_cbranch_execz .LBB4_302
; %bb.277:                              ;   in Loop: Header=BB4_274 Depth=3
	v_and_b32_e32 v3, 8, v30
	s_mov_b32 s15, exec_lo
	s_delay_alu instid0(VALU_DEP_1)
	v_add_co_u32 v10, vcc_lo, v48, v3
	s_wait_alu 0xfffd
	v_add_co_ci_u32_e64 v11, null, 0, v49, vcc_lo
	v_add_co_u32 v8, vcc_lo, v64, 2
	s_wait_alu 0xfffd
	v_add_co_ci_u32_e64 v9, null, 0, v65, vcc_lo
	s_delay_alu instid0(VALU_DEP_1)
	v_cmpx_lt_u64_e64 v[10:11], v[8:9]
	s_cbranch_execz .LBB4_289
; %bb.278:                              ;   in Loop: Header=BB4_274 Depth=3
	v_and_b32_e32 v10, 64, v30
	s_mov_b32 s16, 0
	s_mov_b32 s20, 0
                                        ; implicit-def: $sgpr17
                                        ; implicit-def: $sgpr18
                                        ; implicit-def: $sgpr19
	s_delay_alu instid0(VALU_DEP_1)
	v_cmp_eq_u32_e32 vcc_lo, 0, v10
	s_branch .LBB4_282
.LBB4_279:                              ;   in Loop: Header=BB4_282 Depth=4
	v_add_co_u32 v11, s13, v48, v3
	s_wait_alu 0xf1ff
	v_add_co_ci_u32_e64 v12, null, 0, v49, s13
	s_or_b32 s23, s23, exec_lo
	v_cmp_ge_u64_e64 s13, v[11:12], v[8:9]
	s_or_not1_b32 s22, s13, exec_lo
.LBB4_280:                              ;   in Loop: Header=BB4_282 Depth=4
	s_wait_alu 0xfffe
	s_or_b32 exec_lo, exec_lo, s25
	s_delay_alu instid0(SALU_CYCLE_1)
	s_and_not1_b32 s13, s19, exec_lo
	s_and_b32 s19, s23, exec_lo
	s_and_not1_b32 s18, s18, exec_lo
	s_and_b32 s22, s22, exec_lo
	s_wait_alu 0xfffe
	s_or_b32 s19, s13, s19
	s_or_b32 s18, s18, s22
.LBB4_281:                              ;   in Loop: Header=BB4_282 Depth=4
	s_wait_alu 0xfffe
	s_or_b32 exec_lo, exec_lo, s21
	s_delay_alu instid0(SALU_CYCLE_1)
	s_and_b32 s13, exec_lo, s18
	s_wait_alu 0xfffe
	s_or_b32 s16, s13, s16
	s_and_not1_b32 s13, s17, exec_lo
	s_and_b32 s17, s19, exec_lo
	s_wait_alu 0xfffe
	s_or_b32 s17, s13, s17
	s_and_not1_b32 exec_lo, exec_lo, s16
	s_cbranch_execz .LBB4_286
.LBB4_282:                              ;   Parent Loop BB4_47 Depth=1
                                        ;     Parent Loop BB4_271 Depth=2
                                        ;       Parent Loop BB4_274 Depth=3
                                        ; =>      This Inner Loop Header: Depth=4
	s_sleep 1
	flat_load_b64 v[48:49], v[32:33] scope:SCOPE_SYS
	s_wait_loadcnt_dscnt 0x0
	global_inv scope:SCOPE_SYS
	s_or_b32 s19, s19, exec_lo
	s_or_b32 s18, s18, exec_lo
                                        ; implicit-def: $vgpr10
	s_and_saveexec_b32 s21, vcc_lo
	s_cbranch_execz .LBB4_281
; %bb.283:                              ;   in Loop: Header=BB4_282 Depth=4
	s_wait_alu 0xfffe
	s_cmp_lt_i32 s20, 0x270f
	s_mov_b32 s22, -1
	s_cselect_b32 s24, -1, 0
	s_cmp_gt_i32 s20, 0x270e
	s_cbranch_scc0 .LBB4_285
; %bb.284:                              ;   in Loop: Header=BB4_282 Depth=4
	s_trap 2
	ds_load_b64 v[10:11], v0
	s_wait_alu 0xfffe
	s_and_not1_b32 s20, s24, exec_lo
	s_mov_b32 s23, 0
	s_wait_storecnt 0x0
	s_wait_loadcnt_dscnt 0x0
	flat_load_b32 v10, v[10:11] scope:SCOPE_SYS
	s_wait_loadcnt_dscnt 0x0
	global_inv scope:SCOPE_SYS
	v_cmp_eq_u32_e64 s13, 0, v10
	s_and_b32 s13, s13, exec_lo
	s_wait_alu 0xfffe
	s_or_b32 s24, s20, s13
	s_mov_b32 s20, 0
	s_wait_alu 0xfffe
	s_and_saveexec_b32 s25, s24
	s_cbranch_execz .LBB4_280
	s_branch .LBB4_279
.LBB4_285:                              ;   in Loop: Header=BB4_282 Depth=4
	s_add_co_i32 s20, s20, 1
	s_mov_b32 s23, -1
                                        ; implicit-def: $vgpr10
	s_wait_alu 0xfffe
	s_and_saveexec_b32 s25, s24
	s_cbranch_execz .LBB4_280
	s_branch .LBB4_279
.LBB4_286:                              ;   in Loop: Header=BB4_274 Depth=3
	s_or_b32 exec_lo, exec_lo, s16
	s_wait_alu 0xfffe
	s_xor_b32 s13, s17, -1
	s_wait_alu 0xfffe
	s_and_saveexec_b32 s16, s13
	s_wait_alu 0xfffe
	s_xor_b32 s13, exec_lo, s16
	s_cbranch_execz .LBB4_288
; %bb.287:                              ;   in Loop: Header=BB4_274 Depth=3
	v_or_b32_e32 v30, 64, v30
	s_wait_loadcnt 0x0
	s_wait_storecnt 0x0
	ds_store_b32 v0, v10
	s_trap 2
.LBB4_288:                              ;   in Loop: Header=BB4_274 Depth=3
	s_wait_alu 0xfffe
	s_or_b32 exec_lo, exec_lo, s13
.LBB4_289:                              ;   in Loop: Header=BB4_274 Depth=3
	s_wait_alu 0xfffe
	s_or_b32 exec_lo, exec_lo, s15
	v_and_b32_e32 v10, 0x108, v30
	;;#ASMSTART
	s_wakeup
	;;#ASMEND
	s_delay_alu instid0(VALU_DEP_1)
	v_cmp_ne_u32_e32 vcc_lo, 0x108, v10
                                        ; implicit-def: $vgpr10_vgpr11
	s_and_saveexec_b32 s13, vcc_lo
	s_wait_alu 0xfffe
	s_xor_b32 s13, exec_lo, s13
; %bb.290:                              ;   in Loop: Header=BB4_274 Depth=3
	v_dual_mov_b32 v11, v2 :: v_dual_and_b32 v10, 7, v64
                                        ; implicit-def: $vgpr64_vgpr65
; %bb.291:                              ;   in Loop: Header=BB4_274 Depth=3
	s_wait_alu 0xfffe
	s_and_not1_saveexec_b32 s13, s13
	s_cbranch_execz .LBB4_293
; %bb.292:                              ;   in Loop: Header=BB4_274 Depth=3
	v_dual_mov_b32 v11, v2 :: v_dual_and_b32 v10, 7, v64
	v_ashrrev_i32_e32 v69, 31, v68
	s_delay_alu instid0(VALU_DEP_2)
	v_mad_co_u64_u32 v[12:13], null, v10, 24, v[6:7]
	flat_store_b64 v[12:13], v[68:69] offset:8
.LBB4_293:                              ;   in Loop: Header=BB4_274 Depth=3
	s_wait_alu 0xfffe
	s_or_b32 exec_lo, exec_lo, s13
	v_and_b32_e32 v12, 0x100, v30
	s_mov_b32 s13, -1
	s_delay_alu instid0(VALU_DEP_1)
	v_cmp_ne_u32_e32 vcc_lo, 0, v12
                                        ; implicit-def: $vgpr12_vgpr13
	s_and_saveexec_b32 s15, vcc_lo
	s_cbranch_execz .LBB4_297
; %bb.294:                              ;   in Loop: Header=BB4_274 Depth=3
	v_mad_co_u64_u32 v[14:15], null, v10, 24, v[6:7]
	s_delay_alu instid0(VALU_DEP_1) | instskip(NEXT) | instid1(VALU_DEP_1)
	v_mov_b32_e32 v12, v15
	v_mad_co_u64_u32 v[12:13], null, v11, 24, v[12:13]
	s_delay_alu instid0(VALU_DEP_1)
	v_mov_b32_e32 v15, v12
	flat_load_b32 v12, v[14:15]
	s_wait_loadcnt_dscnt 0x0
	v_cmp_eq_u32_e64 s13, 1, v12
	v_cmp_ne_u32_e32 vcc_lo, 1, v12
                                        ; implicit-def: $vgpr12_vgpr13
	s_wait_alu 0xfffe
	s_and_saveexec_b32 s16, s13
	s_cbranch_execz .LBB4_296
; %bb.295:                              ;   in Loop: Header=BB4_274 Depth=3
	flat_load_b32 v12, v[14:15] offset:4 scope:SCOPE_SYS
	s_wait_loadcnt_dscnt 0x0
	v_ashrrev_i32_e32 v13, 31, v12
.LBB4_296:                              ;   in Loop: Header=BB4_274 Depth=3
	s_wait_alu 0xfffe
	s_or_b32 exec_lo, exec_lo, s16
	s_delay_alu instid0(SALU_CYCLE_1)
	s_or_not1_b32 s13, vcc_lo, exec_lo
.LBB4_297:                              ;   in Loop: Header=BB4_274 Depth=3
	s_wait_alu 0xfffe
	s_or_b32 exec_lo, exec_lo, s15
	s_and_saveexec_b32 s15, s13
; %bb.298:                              ;   in Loop: Header=BB4_274 Depth=3
	v_mul_lo_u32 v11, v11, v100
	v_mul_lo_u32 v14, v10, v102
	v_mad_co_u64_u32 v[12:13], null, v10, v100, 0
	s_delay_alu instid0(VALU_DEP_1)
	v_add3_u32 v13, v13, v14, v11
; %bb.299:                              ;   in Loop: Header=BB4_274 Depth=3
	s_wait_alu 0xfffe
	s_or_b32 exec_lo, exec_lo, s15
	v_cmp_eq_u32_e32 vcc_lo, 0, v3
	v_and_b32_e32 v14, 0x2000, v30
	s_mov_b32 s13, exec_lo
	s_wait_alu 0xfffd
	v_cndmask_b32_e32 v3, 0xc8, v114, vcc_lo
	v_add_co_u32 v10, vcc_lo, v34, v12
	s_wait_alu 0xfffd
	v_add_co_ci_u32_e64 v11, null, v35, v13, vcc_lo
	s_delay_alu instid0(VALU_DEP_3)
	v_add_nc_u32_e32 v3, v0, v3
	ds_store_b64 v3, v[10:11] offset:584
	v_cmpx_ne_u32_e32 0, v14
	s_cbranch_execz .LBB4_301
; %bb.300:                              ;   in Loop: Header=BB4_274 Depth=3
	ds_load_b64 v[10:11], v0 offset:872
	s_wait_dscnt 0x0
	v_add_co_u32 v10, vcc_lo, v10, 1
	s_wait_alu 0xfffd
	v_add_co_ci_u32_e64 v11, null, 0, v11, vcc_lo
	ds_store_b64 v0, v[10:11] offset:872
.LBB4_301:                              ;   in Loop: Header=BB4_274 Depth=3
	s_wait_alu 0xfffe
	s_or_b32 exec_lo, exec_lo, s13
	v_dual_mov_b32 v65, v9 :: v_dual_mov_b32 v64, v8
.LBB4_302:                              ;   in Loop: Header=BB4_274 Depth=3
	s_wait_alu 0xfffe
	s_or_b32 exec_lo, exec_lo, s14
	s_and_saveexec_b32 s13, s2
	s_cbranch_execz .LBB4_321
; %bb.303:                              ;   in Loop: Header=BB4_274 Depth=3
	s_and_saveexec_b32 s14, s3
	s_wait_alu 0xfffe
	s_xor_b32 s14, exec_lo, s14
	s_cbranch_execz .LBB4_318
; %bb.304:                              ;   in Loop: Header=BB4_274 Depth=3
	s_and_saveexec_b32 s15, s6
	s_cbranch_execz .LBB4_317
; %bb.305:                              ;   in Loop: Header=BB4_274 Depth=3
	s_mov_b32 s17, exec_lo
	s_mov_b32 s16, exec_lo
	s_wait_alu 0xfffe
	v_mbcnt_lo_u32_b32 v3, s17, 0
	s_wait_storecnt 0x0
	s_wait_loadcnt_dscnt 0x0
	global_inv scope:SCOPE_DEV
	v_cmpx_eq_u32_e32 0, v3
	s_cbranch_execz .LBB4_307
; %bb.306:                              ;   in Loop: Header=BB4_274 Depth=3
	s_bcnt1_i32_b32 s17, s17
	s_wait_alu 0xfffe
	v_dual_mov_b32 v9, v2 :: v_dual_mov_b32 v8, s17
	s_wait_loadcnt 0x0
	ds_add_u64 v0, v[8:9]
	s_trap 2
.LBB4_307:                              ;   in Loop: Header=BB4_274 Depth=3
	s_or_b32 exec_lo, exec_lo, s16
	s_trap 2
	ds_load_b64 v[8:9], v0
	s_wait_dscnt 0x0
	global_inv scope:SCOPE_SE
	v_add_co_u32 v38, vcc_lo, v38, v103
	s_wait_alu 0xfffd
	v_add_co_ci_u32_e64 v39, null, 0, v39, vcc_lo
	s_mov_b32 s16, exec_lo
	v_cmpx_lt_u64_e64 v[8:9], v[38:39]
	s_cbranch_execz .LBB4_316
; %bb.308:                              ;   in Loop: Header=BB4_274 Depth=3
	s_mov_b32 s17, 0
	s_mov_b32 s20, 0
                                        ; implicit-def: $sgpr18
                                        ; implicit-def: $sgpr19
	s_branch .LBB4_310
.LBB4_309:                              ;   in Loop: Header=BB4_310 Depth=4
	s_wait_alu 0xfffe
	s_or_b32 exec_lo, exec_lo, s22
	s_delay_alu instid0(SALU_CYCLE_1)
	s_and_b32 s21, exec_lo, s23
	s_wait_alu 0xfffe
	s_or_b32 s17, s21, s17
	s_and_not1_b32 s18, s18, exec_lo
	s_and_b32 s21, s19, exec_lo
	s_wait_alu 0xfffe
	s_or_b32 s18, s18, s21
	s_and_not1_b32 exec_lo, exec_lo, s17
	s_cbranch_execz .LBB4_314
.LBB4_310:                              ;   Parent Loop BB4_47 Depth=1
                                        ;     Parent Loop BB4_271 Depth=2
                                        ;       Parent Loop BB4_274 Depth=3
                                        ; =>      This Inner Loop Header: Depth=4
	s_wait_alu 0xfffe
	s_add_co_i32 s20, s20, 1
	s_wait_alu 0xfffe
	s_cmp_lg_u32 s20, 0x2710
	s_cselect_b32 s21, -1, 0
	s_wait_alu 0xfffe
	s_and_b32 vcc_lo, exec_lo, s21
	s_wait_alu 0xfffe
	s_cbranch_vccz .LBB4_312
; %bb.311:                              ;   in Loop: Header=BB4_310 Depth=4
	s_mov_b32 s23, -1
	s_or_b32 s19, s19, exec_lo
	s_and_saveexec_b32 s22, s21
	s_cbranch_execz .LBB4_309
	s_branch .LBB4_313
.LBB4_312:                              ;   in Loop: Header=BB4_310 Depth=4
	s_trap 2
	ds_load_b64 v[8:9], v0
	s_and_not1_b32 s21, s21, exec_lo
	s_mov_b32 s20, 0
	s_wait_loadcnt_dscnt 0x0
	flat_load_b32 v3, v[8:9] scope:SCOPE_SYS
	s_wait_loadcnt_dscnt 0x0
	global_inv scope:SCOPE_SYS
	v_cmp_eq_u32_e32 vcc_lo, 0, v3
	s_and_b32 s22, vcc_lo, exec_lo
	s_wait_alu 0xfffe
	s_or_b32 s21, s21, s22
	s_mov_b32 s23, -1
	s_or_b32 s19, s19, exec_lo
	s_wait_alu 0xfffe
	s_and_saveexec_b32 s22, s21
	s_cbranch_execz .LBB4_309
.LBB4_313:                              ;   in Loop: Header=BB4_310 Depth=4
	s_sleep 1
	s_trap 2
	ds_load_b64 v[8:9], v0
	s_wait_dscnt 0x0
	global_inv scope:SCOPE_SE
	s_wait_alu 0xfffe
	s_and_not1_b32 s19, s19, exec_lo
	v_cmp_ge_u64_e32 vcc_lo, v[8:9], v[38:39]
	s_or_not1_b32 s23, vcc_lo, exec_lo
	s_branch .LBB4_309
.LBB4_314:                              ;   in Loop: Header=BB4_274 Depth=3
	s_or_b32 exec_lo, exec_lo, s17
	s_wait_alu 0xfffe
	s_and_saveexec_b32 s17, s18
	s_wait_alu 0xfffe
	s_xor_b32 s17, exec_lo, s17
	s_cbranch_execz .LBB4_316
; %bb.315:                              ;   in Loop: Header=BB4_274 Depth=3
	ds_store_b32 v0, v113
	s_trap 2
.LBB4_316:                              ;   in Loop: Header=BB4_274 Depth=3
	s_wait_alu 0xfffe
	s_or_b32 exec_lo, exec_lo, s16
	;;#ASMSTART
	s_wakeup
	;;#ASMEND
.LBB4_317:                              ;   in Loop: Header=BB4_274 Depth=3
	s_wait_alu 0xfffe
	s_or_b32 exec_lo, exec_lo, s15
.LBB4_318:                              ;   in Loop: Header=BB4_274 Depth=3
	s_wait_alu 0xfffe
	s_and_not1_saveexec_b32 s14, s14
	s_cbranch_execz .LBB4_320
; %bb.319:                              ;   in Loop: Header=BB4_274 Depth=3
	s_wait_storecnt 0x0
	s_wait_loadcnt_dscnt 0x0
	global_inv scope:SCOPE_DEV
	s_barrier_signal -1
	s_barrier_wait -1
.LBB4_320:                              ;   in Loop: Header=BB4_274 Depth=3
	s_wait_alu 0xfffe
	s_or_b32 exec_lo, exec_lo, s14
.LBB4_321:                              ;   in Loop: Header=BB4_274 Depth=3
	s_wait_alu 0xfffe
	s_or_b32 exec_lo, exec_lo, s13
	s_trap 2
	ds_load_b32 v3, v0
	v_and_b32_e32 v8, 0x4000, v30
	s_xor_b32 s13, s1, -1
	s_delay_alu instid0(VALU_DEP_1)
	v_cmp_ne_u32_e32 vcc_lo, 0, v8
	s_wait_alu 0xfffe
	s_and_b32 s14, s13, vcc_lo
	s_wait_alu 0xfffe
	s_and_saveexec_b32 s13, s14
	s_cbranch_execz .LBB4_340
; %bb.322:                              ;   in Loop: Header=BB4_274 Depth=3
	s_and_saveexec_b32 s14, s3
	s_wait_alu 0xfffe
	s_xor_b32 s14, exec_lo, s14
	s_cbranch_execz .LBB4_337
; %bb.323:                              ;   in Loop: Header=BB4_274 Depth=3
	s_and_saveexec_b32 s15, s6
	s_cbranch_execz .LBB4_336
; %bb.324:                              ;   in Loop: Header=BB4_274 Depth=3
	s_mov_b32 s17, exec_lo
	s_mov_b32 s16, exec_lo
	s_wait_alu 0xfffe
	v_mbcnt_lo_u32_b32 v8, s17, 0
	s_wait_storecnt 0x0
	s_wait_loadcnt_dscnt 0x0
	global_inv scope:SCOPE_DEV
	v_cmpx_eq_u32_e32 0, v8
	s_cbranch_execz .LBB4_326
; %bb.325:                              ;   in Loop: Header=BB4_274 Depth=3
	s_bcnt1_i32_b32 s17, s17
	s_wait_alu 0xfffe
	v_dual_mov_b32 v9, v2 :: v_dual_mov_b32 v8, s17
	s_wait_loadcnt 0x0
	ds_add_u64 v0, v[8:9]
	s_trap 2
.LBB4_326:                              ;   in Loop: Header=BB4_274 Depth=3
	s_or_b32 exec_lo, exec_lo, s16
	s_trap 2
	ds_load_b64 v[8:9], v0
	s_wait_dscnt 0x0
	global_inv scope:SCOPE_SE
	v_add_co_u32 v38, vcc_lo, v38, v103
	s_wait_alu 0xfffd
	v_add_co_ci_u32_e64 v39, null, 0, v39, vcc_lo
	s_mov_b32 s16, exec_lo
	v_cmpx_lt_u64_e64 v[8:9], v[38:39]
	s_cbranch_execz .LBB4_335
; %bb.327:                              ;   in Loop: Header=BB4_274 Depth=3
	s_mov_b32 s17, 0
	s_mov_b32 s20, 0
                                        ; implicit-def: $sgpr18
                                        ; implicit-def: $sgpr19
	s_branch .LBB4_329
.LBB4_328:                              ;   in Loop: Header=BB4_329 Depth=4
	s_wait_alu 0xfffe
	s_or_b32 exec_lo, exec_lo, s22
	s_delay_alu instid0(SALU_CYCLE_1)
	s_and_b32 s21, exec_lo, s23
	s_wait_alu 0xfffe
	s_or_b32 s17, s21, s17
	s_and_not1_b32 s18, s18, exec_lo
	s_and_b32 s21, s19, exec_lo
	s_wait_alu 0xfffe
	s_or_b32 s18, s18, s21
	s_and_not1_b32 exec_lo, exec_lo, s17
	s_cbranch_execz .LBB4_333
.LBB4_329:                              ;   Parent Loop BB4_47 Depth=1
                                        ;     Parent Loop BB4_271 Depth=2
                                        ;       Parent Loop BB4_274 Depth=3
                                        ; =>      This Inner Loop Header: Depth=4
	s_wait_alu 0xfffe
	s_add_co_i32 s20, s20, 1
	s_wait_alu 0xfffe
	s_cmp_lg_u32 s20, 0x2710
	s_cselect_b32 s21, -1, 0
	s_wait_alu 0xfffe
	s_and_b32 vcc_lo, exec_lo, s21
	s_wait_alu 0xfffe
	s_cbranch_vccz .LBB4_331
; %bb.330:                              ;   in Loop: Header=BB4_329 Depth=4
	s_mov_b32 s23, -1
	s_or_b32 s19, s19, exec_lo
	s_and_saveexec_b32 s22, s21
	s_cbranch_execz .LBB4_328
	s_branch .LBB4_332
.LBB4_331:                              ;   in Loop: Header=BB4_329 Depth=4
	s_trap 2
	ds_load_b64 v[8:9], v0
	s_and_not1_b32 s21, s21, exec_lo
	s_mov_b32 s20, 0
	s_wait_loadcnt_dscnt 0x0
	flat_load_b32 v8, v[8:9] scope:SCOPE_SYS
	s_wait_loadcnt_dscnt 0x0
	global_inv scope:SCOPE_SYS
	v_cmp_eq_u32_e32 vcc_lo, 0, v8
	s_and_b32 s22, vcc_lo, exec_lo
	s_wait_alu 0xfffe
	s_or_b32 s21, s21, s22
	s_mov_b32 s23, -1
	s_or_b32 s19, s19, exec_lo
	s_wait_alu 0xfffe
	s_and_saveexec_b32 s22, s21
	s_cbranch_execz .LBB4_328
.LBB4_332:                              ;   in Loop: Header=BB4_329 Depth=4
	s_sleep 1
	s_trap 2
	ds_load_b64 v[8:9], v0
	s_wait_dscnt 0x0
	global_inv scope:SCOPE_SE
	s_wait_alu 0xfffe
	s_and_not1_b32 s19, s19, exec_lo
	v_cmp_ge_u64_e32 vcc_lo, v[8:9], v[38:39]
	s_or_not1_b32 s23, vcc_lo, exec_lo
	s_branch .LBB4_328
.LBB4_333:                              ;   in Loop: Header=BB4_274 Depth=3
	s_or_b32 exec_lo, exec_lo, s17
	s_wait_alu 0xfffe
	s_and_saveexec_b32 s17, s18
	s_wait_alu 0xfffe
	s_xor_b32 s17, exec_lo, s17
	s_cbranch_execz .LBB4_335
; %bb.334:                              ;   in Loop: Header=BB4_274 Depth=3
	ds_store_b32 v0, v113
	s_trap 2
.LBB4_335:                              ;   in Loop: Header=BB4_274 Depth=3
	s_wait_alu 0xfffe
	s_or_b32 exec_lo, exec_lo, s16
	;;#ASMSTART
	s_wakeup
	;;#ASMEND
.LBB4_336:                              ;   in Loop: Header=BB4_274 Depth=3
	s_wait_alu 0xfffe
	s_or_b32 exec_lo, exec_lo, s15
.LBB4_337:                              ;   in Loop: Header=BB4_274 Depth=3
	s_wait_alu 0xfffe
	s_and_not1_saveexec_b32 s14, s14
	s_cbranch_execz .LBB4_339
; %bb.338:                              ;   in Loop: Header=BB4_274 Depth=3
	s_wait_storecnt 0x0
	s_wait_loadcnt_dscnt 0x0
	global_inv scope:SCOPE_DEV
	s_barrier_signal -1
	s_barrier_wait -1
.LBB4_339:                              ;   in Loop: Header=BB4_274 Depth=3
	s_wait_alu 0xfffe
	s_or_b32 exec_lo, exec_lo, s14
.LBB4_340:                              ;   in Loop: Header=BB4_274 Depth=3
	s_wait_alu 0xfffe
	s_or_b32 exec_lo, exec_lo, s13
	s_trap 2
	ds_load_b64 v[80:81], v0
	s_wait_dscnt 0x0
	v_cmp_eq_u64_e32 vcc_lo, 0, v[80:81]
	s_cbranch_vccnz .LBB4_348
; %bb.341:                              ;   in Loop: Header=BB4_274 Depth=3
	s_trap 2
	ds_load_b64 v[82:83], v0
	s_wait_dscnt 0x0
	v_cmp_eq_u64_e32 vcc_lo, 0, v[82:83]
	s_cbranch_vccnz .LBB4_348
; %bb.342:                              ;   in Loop: Header=BB4_274 Depth=3
	s_mov_b32 s13, -1
	s_and_saveexec_b32 s14, s12
	s_cbranch_execz .LBB4_344
; %bb.343:                              ;   in Loop: Header=BB4_274 Depth=3
	ds_load_b32 v8, v0 offset:720
	s_wait_dscnt 0x0
	v_and_b32_e32 v8, 15, v8
	s_delay_alu instid0(VALU_DEP_1)
	v_cmp_eq_u32_e32 vcc_lo, 0, v8
	s_or_not1_b32 s13, vcc_lo, exec_lo
.LBB4_344:                              ;   in Loop: Header=BB4_274 Depth=3
	s_wait_alu 0xfffe
	s_or_b32 exec_lo, exec_lo, s14
	s_and_saveexec_b32 s14, s11
	s_cbranch_execz .LBB4_346
; %bb.345:                              ;   in Loop: Header=BB4_274 Depth=3
	ds_load_b32 v8, v0 offset:784
	s_wait_dscnt 0x0
	v_and_b32_e32 v8, 15, v8
	s_delay_alu instid0(VALU_DEP_1)
	v_cmp_eq_u32_e32 vcc_lo, 0, v8
	s_and_b32 s15, s13, vcc_lo
	s_and_not1_b32 s13, s13, exec_lo
	s_wait_alu 0xfffe
	s_and_b32 s15, s15, exec_lo
	s_wait_alu 0xfffe
	s_or_b32 s13, s13, s15
.LBB4_346:                              ;   in Loop: Header=BB4_274 Depth=3
	s_wait_alu 0xfffe
	s_or_b32 exec_lo, exec_lo, s14
	v_cmp_eq_u32_e32 vcc_lo, 0, v3
	s_xor_b32 s13, s13, -1
	v_mov_b32_e32 v17, v0
	s_wait_alu 0xfffe
	v_cndmask_b32_e64 v8, 0, 1, s13
	s_mov_b32 s13, -1
	s_wait_alu 0xfffd
	v_dual_cndmask_b32 v3, 0, v68 :: v_dual_mov_b32 v14, 0
	s_delay_alu instid0(VALU_DEP_2) | instskip(NEXT) | instid1(VALU_DEP_2)
	v_cmp_ne_u32_e32 vcc_lo, 0, v8
	v_dual_mov_b32 v8, v130 :: v_dual_mov_b32 v15, v3
	s_cbranch_vccz .LBB4_353
; %bb.347:                              ;   in Loop: Header=BB4_274 Depth=3
	s_wait_alu 0xfffe
	s_and_saveexec_b32 s29, s13
	s_cbranch_execnz .LBB4_366
	s_branch .LBB4_374
.LBB4_348:                              ;   in Loop: Header=BB4_274 Depth=3
	s_mov_b32 s13, 0
	s_and_saveexec_b32 s14, s2
	s_cbranch_execnz .LBB4_375
.LBB4_349:                              ;   in Loop: Header=BB4_274 Depth=3
	s_wait_alu 0xfffe
	s_or_b32 exec_lo, exec_lo, s14
                                        ; implicit-def: $vgpr3
	s_and_saveexec_b32 s14, s10
	s_wait_alu 0xfffe
	s_xor_b32 s14, exec_lo, s14
	s_cbranch_execz .LBB4_393
.LBB4_350:                              ;   in Loop: Header=BB4_274 Depth=3
	v_and_b32_e32 v3, 16, v30
	s_delay_alu instid0(VALU_DEP_1)
	v_cmp_ne_u32_e32 vcc_lo, 0, v3
	v_and_b32_e32 v3, 16, v30
	s_and_b32 s15, vcc_lo, s13
	s_wait_alu 0xfffe
	s_and_saveexec_b32 s13, s15
	s_cbranch_execz .LBB4_352
; %bb.351:                              ;   in Loop: Header=BB4_274 Depth=3
	v_mov_b32_e32 v3, 1
	global_wb scope:SCOPE_SYS
	s_wait_storecnt 0x0
	s_wait_loadcnt_dscnt 0x0
	global_inv scope:SCOPE_SYS
.LBB4_352:                              ;   in Loop: Header=BB4_274 Depth=3
	s_wait_alu 0xfffe
	s_or_b32 exec_lo, exec_lo, s13
	s_and_not1_saveexec_b32 s13, s14
	s_cbranch_execz .LBB4_412
	s_branch .LBB4_394
.LBB4_353:                              ;   in Loop: Header=BB4_274 Depth=3
	v_ashrrev_i32_e32 v8, 31, v3
	s_mov_b32 s48, exec_lo
	s_delay_alu instid0(VALU_DEP_1) | instskip(NEXT) | instid1(VALU_DEP_1)
	v_lshrrev_b32_e32 v8, 22, v8
	v_add_nc_u32_e32 v8, v3, v8
	s_delay_alu instid0(VALU_DEP_1) | instskip(NEXT) | instid1(VALU_DEP_1)
	v_ashrrev_i32_e32 v151, 10, v8
	v_sub_nc_u32_e32 v69, v151, v130
	s_delay_alu instid0(VALU_DEP_1)
	v_cmpx_lt_i32_e32 0, v69
	s_cbranch_execz .LBB4_357
; %bb.354:                              ;   in Loop: Header=BB4_274 Depth=3
	s_trap 2
	ds_load_b64 v[8:9], v0
	v_add_co_u32 v84, vcc_lo, v80, v146
	s_wait_alu 0xfffd
	v_add_co_ci_u32_e64 v85, null, v81, v148, vcc_lo
	s_mov_b32 s49, 0
	s_wait_dscnt 0x0
	v_add_co_u32 v86, vcc_lo, v8, v146
	s_wait_alu 0xfffd
	v_add_co_ci_u32_e64 v87, null, v9, v148, vcc_lo
	v_add_co_u32 v96, vcc_lo, v82, v146
	s_wait_alu 0xfffd
	v_add_co_ci_u32_e64 v97, null, v83, v148, vcc_lo
.LBB4_355:                              ;   Parent Loop BB4_47 Depth=1
                                        ;     Parent Loop BB4_271 Depth=2
                                        ;       Parent Loop BB4_274 Depth=3
                                        ; =>      This Inner Loop Header: Depth=4
	global_load_b128 v[16:19], v[84:85], off th:TH_LOAD_NT
	global_load_b128 v[20:23], v[86:87], off th:TH_LOAD_NT
	global_load_b128 v[8:11], v[84:85], off offset:512 th:TH_LOAD_NT
	global_load_b128 v[12:15], v[86:87], off offset:512 th:TH_LOAD_NT
	v_dual_mov_b32 v160, 0 :: v_dual_mov_b32 v161, 0
	v_dual_mov_b32 v162, 0 :: v_dual_mov_b32 v165, 0
	;; [unrolled: 1-line block ×16, first 2 shown]
	v_sub_nc_u32_e32 v69, v69, v103
	v_add_co_u32 v84, vcc_lo, v84, v118
	s_wait_alu 0xfffd
	v_add_co_ci_u32_e64 v85, null, 0, v85, vcc_lo
	v_add_co_u32 v86, vcc_lo, v86, v118
	s_wait_alu 0xfffd
	v_add_co_ci_u32_e64 v87, null, 0, v87, vcc_lo
	v_cmp_gt_i32_e32 vcc_lo, 1, v69
	s_wait_alu 0xfffe
	s_or_b32 s49, vcc_lo, s49
	s_wait_loadcnt 0x3
	v_bfe_u32 v74, v16, 8, 8
	s_wait_loadcnt 0x2
	v_bfe_u32 v75, v20, 8, 8
	v_lshrrev_b32_e32 v76, 24, v16
	v_lshrrev_b32_e32 v77, 24, v20
	v_lshrrev_b32_e32 v90, 24, v17
	v_lshrrev_b32_e32 v91, 24, v21
	v_cvt_f32_bf8_e32 v74, v74
	v_cvt_f32_bf8_e32 v75, v75
	v_and_b32_e32 v72, 0xff, v16
	v_bfe_u32 v16, v16, 16, 8
	v_cvt_f32_bf8_e32 v76, v76
	v_cvt_f32_bf8_e32 v77, v77
	v_and_b32_e32 v73, 0xff, v20
	v_bfe_u32 v20, v20, 16, 8
	v_bfe_u32 v88, v17, 8, 8
	;; [unrolled: 1-line block ×3, first 2 shown]
	v_cvt_f32_bf8_e32 v16, v16
	v_cvt_f32_bf8_e32 v90, v90
	;; [unrolled: 1-line block ×3, first 2 shown]
	v_and_b32_e32 v79, 0xff, v21
	v_bfe_u32 v21, v21, 16, 8
	v_cvt_f32_bf8_e32 v91, v91
	v_and_b32_e32 v78, 0xff, v17
	v_bfe_u32 v17, v17, 16, 8
	v_bfe_u32 v94, v18, 8, 8
	v_bfe_u32 v95, v22, 8, 8
	v_cvt_f32_bf8_e32 v21, v21
	v_cvt_f32_bf8_e32 v72, v72
	;; [unrolled: 1-line block ×5, first 2 shown]
	v_and_b32_e32 v92, 0xff, v18
	v_mul_f32_e32 v16, v16, v20
	v_mul_f32_e32 v20, v76, v77
	v_cvt_f32_bf8_e32 v73, v73
	v_and_b32_e32 v93, 0xff, v22
	v_lshrrev_b32_e32 v104, 24, v18
	v_lshrrev_b32_e32 v105, 24, v22
	v_bfe_u32 v18, v18, 16, 8
	v_bfe_u32 v22, v22, 16, 8
	v_dual_mul_f32 v17, v17, v21 :: v_dual_and_b32 v106, 0xff, v19
	v_bfe_u32 v108, v19, 8, 8
	v_bfe_u32 v109, v23, 8, 8
	s_wait_loadcnt 0x1
	v_bfe_u32 v136, v9, 8, 8
	s_wait_loadcnt 0x0
	v_bfe_u32 v137, v13, 8, 8
	v_cvt_f32_bf8_e32 v79, v79
	v_cvt_f32_bf8_e32 v94, v94
	;; [unrolled: 1-line block ×3, first 2 shown]
	v_dual_mul_f32 v21, v90, v91 :: v_dual_and_b32 v120, 0xff, v8
	v_cvt_f32_bf8_e32 v78, v78
	v_and_b32_e32 v121, 0xff, v12
	v_lshrrev_b32_e32 v110, 24, v19
	v_lshrrev_b32_e32 v111, 24, v23
	v_bfe_u32 v19, v19, 16, 8
	v_bfe_u32 v122, v8, 8, 8
	;; [unrolled: 1-line block ×3, first 2 shown]
	v_lshrrev_b32_e32 v124, 24, v8
	v_lshrrev_b32_e32 v125, 24, v12
	v_bfe_u32 v8, v8, 16, 8
	v_bfe_u32 v12, v12, 16, 8
	v_mul_f32_e32 v72, v72, v73
	v_cvt_f32_bf8_e32 v93, v93
	v_mul_f32_e32 v73, v74, v75
	v_mul_f32_e32 v75, v88, v89
	v_cvt_f32_bf8_e32 v92, v92
	v_and_b32_e32 v107, 0xff, v23
	v_bfe_u32 v23, v23, 16, 8
	v_bfe_u32 v142, v10, 8, 8
	;; [unrolled: 1-line block ×3, first 2 shown]
	v_lshrrev_b32_e32 v152, 24, v10
	v_lshrrev_b32_e32 v153, 24, v14
	v_bfe_u32 v156, v11, 8, 8
	v_bfe_u32 v157, v15, 8, 8
	v_lshrrev_b32_e32 v158, 24, v11
	v_lshrrev_b32_e32 v159, 24, v15
	v_cvt_f32_bf8_e32 v18, v18
	v_cvt_f32_bf8_e32 v22, v22
	;; [unrolled: 1-line block ×4, first 2 shown]
	v_and_b32_e32 v141, 0xff, v14
	v_bfe_u32 v14, v14, 16, 8
	v_cvt_f32_bf8_e32 v108, v108
	v_cvt_f32_bf8_e32 v109, v109
	v_and_b32_e32 v140, 0xff, v10
	v_bfe_u32 v10, v10, 16, 8
	v_cvt_f32_bf8_e32 v136, v136
	v_cvt_f32_bf8_e32 v137, v137
	v_and_b32_e32 v154, 0xff, v11
	v_bfe_u32 v11, v11, 16, 8
	v_mul_f32_e32 v74, v78, v79
	v_cvt_f32_bf8_e32 v121, v121
	v_mul_f32_e32 v77, v94, v95
	v_cvt_f32_bf8_e32 v120, v120
	v_and_b32_e32 v155, 0xff, v15
	v_bfe_u32 v15, v15, 16, 8
	v_dual_mul_f32 v18, v18, v22 :: v_dual_and_b32 v127, 0xff, v13
	v_lshrrev_b32_e32 v138, 24, v9
	v_lshrrev_b32_e32 v139, 24, v13
	v_bfe_u32 v13, v13, 16, 8
	v_cvt_f32_bf8_e32 v19, v19
	v_cvt_f32_bf8_e32 v23, v23
	v_and_b32_e32 v126, 0xff, v9
	v_bfe_u32 v9, v9, 16, 8
	v_cvt_f32_bf8_e32 v110, v110
	v_cvt_f32_bf8_e32 v111, v111
	;; [unrolled: 1-line block ×8, first 2 shown]
	v_mul_f32_e32 v22, v104, v105
	v_med3_num_f32 v105, v73, s89, 0xc7600000
	v_cmp_nlg_f32_e64 s13, 0x7f800000, |v73|
	v_cvt_f32_bf8_e32 v106, v106
	v_cvt_f32_bf8_e32 v9, v9
	;; [unrolled: 1-line block ×5, first 2 shown]
	v_mul_f32_e32 v76, v92, v93
	v_cvt_f32_bf8_e32 v107, v107
	v_mul_f32_e32 v19, v19, v23
	v_dual_mul_f32 v23, v110, v111 :: v_dual_mul_f32 v8, v8, v12
	v_cvt_f32_bf8_e32 v122, v122
	v_cvt_f32_bf8_e32 v123, v123
	;; [unrolled: 1-line block ×10, first 2 shown]
	v_dual_mul_f32 v79, v108, v109 :: v_dual_mul_f32 v10, v10, v14
	v_mul_f32_e32 v11, v11, v15
	v_med3_num_f32 v109, v75, s89, 0xc7600000
	v_cmp_nlg_f32_e64 s17, 0x7f800000, |v75|
	s_wait_alu 0xf1ff
	v_cndmask_b32_e64 v73, v105, v73, s13
	v_cvt_f32_bf8_e32 v124, v124
	v_cvt_f32_bf8_e32 v125, v125
	;; [unrolled: 1-line block ×6, first 2 shown]
	v_dual_mul_f32 v78, v106, v107 :: v_dual_mul_f32 v9, v9, v13
	s_delay_alu instid0(VALU_DEP_4)
	v_dual_mul_f32 v13, v138, v139 :: v_dual_mul_f32 v92, v140, v141
	v_med3_num_f32 v138, v8, s89, 0xc7600000
	v_cmp_nlg_f32_e64 s40, 0x7f800000, |v8|
	v_mul_f32_e32 v88, v120, v121
	v_cvt_f32_bf8_e32 v155, v155
	v_dual_mul_f32 v89, v122, v123 :: v_dual_mul_f32 v12, v124, v125
	v_dual_mul_f32 v90, v126, v127 :: v_dual_mul_f32 v95, v156, v157
	v_mul_f32_e32 v91, v136, v137
	v_cvt_f32_bf8_e32 v154, v154
	v_dual_mul_f32 v93, v142, v143 :: v_dual_mul_f32 v14, v152, v153
	v_cmp_nlg_f32_e64 s60, 0x7f800000, |v11|
	v_cndmask_b32_e64 v75, v109, v75, s17
	v_cvt_pk_bf8_f32 v161, v73, v73
	v_mul_f32_e32 v15, v158, v159
	v_med3_num_f32 v158, v11, s89, 0xc7600000
	v_med3_num_f32 v106, v16, s89, 0xc7600000
	v_cmp_nlg_f32_e64 s14, 0x7f800000, |v16|
	v_med3_num_f32 v110, v17, s89, 0xc7600000
	v_cmp_nlg_f32_e64 s18, 0x7f800000, |v17|
	;; [unrolled: 2-line block ×6, first 2 shown]
	s_wait_alu 0xf1ff
	v_cndmask_b32_e64 v8, v138, v8, s40
	v_med3_num_f32 v107, v20, s89, 0xc7600000
	v_cmp_nlg_f32_e64 s15, 0x7f800000, |v20|
	v_med3_num_f32 v111, v21, s89, 0xc7600000
	v_cmp_nlg_f32_e64 s19, 0x7f800000, |v21|
	;; [unrolled: 2-line block ×6, first 2 shown]
	v_cmp_nlg_f32_e64 s56, 0x7f800000, |v10|
	v_med3_num_f32 v157, v95, s89, 0xc7600000
	v_cmp_nlg_f32_e64 s59, 0x7f800000, |v95|
	v_cndmask_b32_e64 v11, v158, v11, s60
	v_cvt_pk_bf8_f32 v165, v75, v75
	v_mul_f32_e32 v94, v154, v155
	v_med3_num_f32 v154, v10, s89, 0xc7600000
	v_med3_num_f32 v104, v72, s89, 0xc7600000
	;; [unrolled: 1-line block ×3, first 2 shown]
	v_cmp_nlg_f32_e64 s16, 0x7f800000, |v74|
	v_med3_num_f32 v120, v76, s89, 0xc7600000
	v_cmp_nlg_f32_e64 s20, 0x7f800000, |v76|
	v_med3_num_f32 v123, v22, s89, 0xc7600000
	;; [unrolled: 2-line block ×6, first 2 shown]
	v_cmp_nlg_f32_e64 s57, 0x7f800000, |v14|
	v_cmp_nlg_f32_e64 s62, 0x7f800000, |v72|
	v_cndmask_b32_e64 v16, v106, v16, s14
	v_cndmask_b32_e64 v17, v110, v17, s18
	;; [unrolled: 1-line block ×6, first 2 shown]
	v_cvt_pk_bf8_f32 v42, v8, v8
	v_lshlrev_b32_e32 v8, 8, v161
	v_med3_num_f32 v159, v15, s89, 0xc7600000
	v_cmp_nlg_f32_e64 s61, 0x7f800000, |v15|
	v_med3_num_f32 v136, v88, s89, 0xc7600000
	v_cmp_nlg_f32_e64 s28, 0x7f800000, |v88|
	;; [unrolled: 2-line block ×5, first 2 shown]
	s_wait_alu 0xf1ff
	v_cndmask_b32_e64 v20, v107, v20, s15
	v_cndmask_b32_e64 v21, v111, v21, s19
	;; [unrolled: 1-line block ×8, first 2 shown]
	v_cvt_pk_bf8_f32 v62, v11, v11
	v_lshlrev_b32_e32 v11, 8, v165
	v_med3_num_f32 v156, v94, s89, 0xc7600000
	v_cmp_nlg_f32_e64 s58, 0x7f800000, |v94|
	v_cndmask_b32_e64 v72, v104, v72, s62
	v_cndmask_b32_e64 v74, v108, v74, s16
	;; [unrolled: 1-line block ×9, first 2 shown]
	v_cvt_pk_bf8_f32 v163, v16, v16
	v_cvt_pk_bf8_f32 v167, v17, v17
	;; [unrolled: 1-line block ×6, first 2 shown]
	v_cndmask_b32_e64 v88, v136, v88, s28
	v_cndmask_b32_e64 v90, v140, v90, s42
	;; [unrolled: 1-line block ×4, first 2 shown]
	s_wait_alu 0xf1ff
	v_cndmask_b32_e64 v94, v156, v94, s58
	v_cvt_pk_bf8_f32 v164, v20, v20
	v_cvt_pk_bf8_f32 v176, v21, v21
	;; [unrolled: 1-line block ×17, first 2 shown]
	v_and_b32_e32 v9, 0xff, v163
	v_and_b32_e32 v12, 0xff, v167
	v_lshlrev_b32_e32 v14, 8, v177
	v_and_b32_e32 v15, 0xff, v179
	v_lshlrev_b32_e32 v17, 8, v181
	v_and_b32_e32 v18, 0xff, v182
	v_cvt_pk_bf8_f32 v183, v88, v88
	v_cvt_pk_bf8_f32 v43, v90, v90
	;; [unrolled: 1-line block ×5, first 2 shown]
	v_lshlrev_b32_e32 v10, 24, v164
	v_lshlrev_b32_e32 v13, 24, v176
	v_lshlrev_b32_e32 v20, 8, v41
	v_and_b32_e32 v21, 0xff, v42
	v_lshlrev_b32_e32 v23, 8, v45
	v_and_b32_e32 v161, 0xff, v46
	v_lshlrev_b32_e32 v164, 8, v57
	v_and_b32_e32 v165, 0xff, v58
	v_lshlrev_b32_e32 v176, 8, v61
	v_and_b32_e32 v177, 0xff, v62
	v_lshlrev_b32_e32 v16, 24, v180
	v_lshlrev_b32_e32 v19, 24, v40
	v_lshlrev_b32_e32 v9, 16, v9
	v_perm_b32 v8, v8, v160, 0xc0c0500
	v_lshlrev_b32_e32 v12, 16, v12
	v_perm_b32 v11, v11, v162, 0xc0c0500
	;; [unrolled: 2-line block ×4, first 2 shown]
	v_lshlrev_b32_e32 v22, 24, v44
	v_lshlrev_b32_e32 v163, 24, v56
	;; [unrolled: 1-line block ×5, first 2 shown]
	v_perm_b32 v20, v20, v183, 0xc0c0500
	v_lshlrev_b32_e32 v160, 16, v161
	v_perm_b32 v23, v23, v43, 0xc0c0500
	v_lshlrev_b32_e32 v161, 16, v165
	;; [unrolled: 2-line block ×3, first 2 shown]
	v_perm_b32 v165, v176, v59, 0xc0c0500
	v_or3_b32 v8, v10, v9, v8
	v_or3_b32 v9, v13, v12, v11
	v_or3_b32 v10, v16, v15, v14
	v_or3_b32 v11, v19, v18, v17
	v_or3_b32 v12, v22, v21, v20
	v_or3_b32 v13, v163, v160, v23
	v_or3_b32 v14, v167, v161, v162
	v_or3_b32 v15, v179, v164, v165
	s_clause 0x1
	global_store_b128 v[96:97], v[8:11], off th:TH_STORE_NT
	global_store_b128 v[96:97], v[12:15], off offset:512 th:TH_STORE_NT
	v_add_co_u32 v96, s13, v96, v118
	s_wait_alu 0xf1ff
	v_add_co_ci_u32_e64 v97, null, 0, v97, s13
	s_wait_alu 0xfffe
	s_and_not1_b32 exec_lo, exec_lo, s49
	s_cbranch_execnz .LBB4_355
; %bb.356:                              ;   in Loop: Header=BB4_274 Depth=3
	s_or_b32 exec_lo, exec_lo, s49
.LBB4_357:                              ;   in Loop: Header=BB4_274 Depth=3
	s_wait_alu 0xfffe
	s_or_b32 exec_lo, exec_lo, s48
	v_lshlrev_b32_e32 v16, 10, v151
	v_mov_b32_e32 v14, 0
	s_mov_b32 s13, 0
	s_mov_b32 s40, exec_lo
                                        ; implicit-def: $vgpr15
                                        ; implicit-def: $vgpr17
                                        ; implicit-def: $vgpr8
	s_delay_alu instid0(VALU_DEP_2)
	v_cmpx_ne_u32_e64 v3, v16
	s_cbranch_execz .LBB4_365
; %bb.358:                              ;   in Loop: Header=BB4_274 Depth=3
	v_lshlrev_b32_e32 v8, 5, v69
	v_sub_nc_u32_e32 v10, v3, v16
	s_mov_b32 s41, exec_lo
	s_delay_alu instid0(VALU_DEP_2) | instskip(NEXT) | instid1(VALU_DEP_2)
	v_sub_nc_u32_e32 v8, v132, v8
	v_ashrrev_i32_e32 v11, 31, v10
	s_delay_alu instid0(VALU_DEP_2) | instskip(NEXT) | instid1(VALU_DEP_2)
	v_ashrrev_i32_e32 v9, 31, v8
	v_lshrrev_b32_e32 v11, 23, v11
	s_delay_alu instid0(VALU_DEP_2) | instskip(NEXT) | instid1(VALU_DEP_2)
	v_lshrrev_b32_e32 v9, 27, v9
	v_add_nc_u32_e32 v11, v10, v11
	s_delay_alu instid0(VALU_DEP_2) | instskip(NEXT) | instid1(VALU_DEP_2)
	v_add_nc_u32_e32 v9, v8, v9
	v_and_b32_e32 v18, 0xfffffe00, v11
	v_ashrrev_i32_e32 v11, 9, v11
	s_delay_alu instid0(VALU_DEP_3) | instskip(NEXT) | instid1(VALU_DEP_3)
	v_and_b32_e32 v12, 0xffffffe0, v9
	v_sub_nc_u32_e32 v20, v10, v18
	v_ashrrev_i32_e32 v9, 5, v9
	s_delay_alu instid0(VALU_DEP_3) | instskip(NEXT) | instid1(VALU_DEP_3)
	v_sub_nc_u32_e32 v19, v8, v12
	v_cmp_lt_i32_e32 vcc_lo, 15, v20
	s_delay_alu instid0(VALU_DEP_2) | instskip(SKIP_2) | instid1(VALU_DEP_2)
	v_lshlrev_b32_e32 v8, 4, v19
	s_wait_alu 0xfffd
	v_add_co_ci_u32_e64 v11, null, 0, v11, vcc_lo
	v_lshl_add_u32 v8, v9, 9, v8
	s_delay_alu instid0(VALU_DEP_2) | instskip(NEXT) | instid1(VALU_DEP_2)
	v_sub_nc_u32_e32 v21, v11, v9
	v_sub_nc_u32_e32 v14, v10, v8
	s_delay_alu instid0(VALU_DEP_1)
	v_cmpx_lt_i32_e32 15, v14
	s_cbranch_execz .LBB4_362
; %bb.359:                              ;   in Loop: Header=BB4_274 Depth=3
	s_trap 2
	ds_load_b64 v[10:11], v0
	v_add_nc_u32_e32 v12, v8, v16
	s_mov_b32 s42, 0
	s_delay_alu instid0(VALU_DEP_1) | instskip(SKIP_2) | instid1(VALU_DEP_2)
	v_ashrrev_i32_e32 v13, 31, v12
	v_add_co_u32 v8, s13, v12, v80
	s_wait_alu 0xf1fe
	v_add_co_ci_u32_e64 v9, null, v13, v81, s13
	s_wait_dscnt 0x0
	v_add_co_u32 v10, s13, v10, v12
	s_wait_alu 0xf1ff
	v_add_co_ci_u32_e64 v11, null, v11, v13, s13
	v_add_co_u32 v12, s13, v12, v82
	s_wait_alu 0xf1ff
	v_add_co_ci_u32_e64 v13, null, v13, v83, s13
.LBB4_360:                              ;   Parent Loop BB4_47 Depth=1
                                        ;     Parent Loop BB4_271 Depth=2
                                        ;       Parent Loop BB4_274 Depth=3
                                        ; =>      This Inner Loop Header: Depth=4
	global_load_b128 v[84:87], v[10:11], off th:TH_LOAD_NT
	global_load_b128 v[160:163], v[8:9], off th:TH_LOAD_NT
	v_mov_b32_e32 v165, 0
	v_mov_b32_e32 v177, 0
	;; [unrolled: 1-line block ×4, first 2 shown]
	v_dual_mov_b32 v17, 0 :: v_dual_mov_b32 v96, 0
	v_dual_mov_b32 v69, 0 :: v_dual_mov_b32 v166, 0
	v_dual_mov_b32 v15, 0 :: v_dual_mov_b32 v22, 0
	v_dual_mov_b32 v151, 0 :: v_dual_mov_b32 v178, 0
	v_dual_mov_b32 v23, 0 :: v_dual_mov_b32 v164, 0
	v_dual_mov_b32 v97, 0 :: v_dual_mov_b32 v176, 0
	v_sub_nc_u32_e32 v14, v14, v117
	v_add_co_u32 v8, s13, v8, v117
	s_wait_alu 0xf1ff
	v_add_co_ci_u32_e64 v9, null, 0, v9, s13
	v_add_co_u32 v10, s13, v10, v117
	s_wait_alu 0xf1ff
	v_add_co_ci_u32_e64 v11, null, 0, v11, s13
	v_cmp_gt_i32_e64 s13, 16, v14
	v_sub_nc_u32_e32 v21, v21, v103
	s_or_b32 s42, s13, s42
	s_wait_loadcnt 0x1
	v_and_b32_e32 v180, 0xff, v84
	v_bfe_u32 v181, v84, 8, 8
	v_lshrrev_b32_e32 v182, 24, v84
	v_bfe_u32 v84, v84, 16, 8
	s_wait_loadcnt 0x0
	v_and_b32_e32 v56, 0xff, v160
	v_bfe_u32 v57, v160, 8, 8
	v_lshrrev_b32_e32 v58, 24, v160
	v_bfe_u32 v160, v160, 16, 8
	v_bfe_u32 v40, v85, 8, 8
	;; [unrolled: 1-line block ×3, first 2 shown]
	v_cvt_f32_bf8_e32 v180, v180
	v_cvt_f32_bf8_e32 v84, v84
	;; [unrolled: 1-line block ×4, first 2 shown]
	v_and_b32_e32 v183, 0xff, v85
	v_cvt_f32_bf8_e32 v160, v160
	v_cvt_f32_bf8_e32 v58, v58
	v_and_b32_e32 v59, 0xff, v161
	v_and_b32_e32 v42, 0xff, v86
	v_bfe_u32 v43, v86, 8, 8
	v_lshrrev_b32_e32 v44, 24, v86
	v_bfe_u32 v86, v86, 16, 8
	v_dual_mul_f32 v84, v84, v160 :: v_dual_and_b32 v45, 0xff, v87
	v_and_b32_e32 v62, 0xff, v162
	v_bfe_u32 v63, v162, 8, 8
	v_lshrrev_b32_e32 v72, 24, v162
	v_bfe_u32 v162, v162, 16, 8
	v_cvt_f32_bf8_e32 v181, v181
	v_cvt_f32_bf8_e32 v40, v40
	;; [unrolled: 1-line block ×4, first 2 shown]
	v_mul_f32_e32 v180, v180, v56
	v_cvt_f32_bf8_e32 v183, v183
	v_mul_f32_e32 v160, v182, v58
	v_cvt_f32_bf8_e32 v59, v59
	v_cvt_f32_bf8_e32 v86, v86
	;; [unrolled: 1-line block ×3, first 2 shown]
	v_mul_f32_e32 v181, v181, v57
	v_lshrrev_b32_e32 v41, 24, v85
	v_dual_mul_f32 v182, v183, v59 :: v_dual_mul_f32 v183, v40, v60
	s_delay_alu instid0(VALU_DEP_4)
	v_mul_f32_e32 v86, v86, v162
	v_bfe_u32 v85, v85, 16, 8
	v_bfe_u32 v46, v87, 8, 8
	v_lshrrev_b32_e32 v61, 24, v161
	v_bfe_u32 v161, v161, 16, 8
	v_bfe_u32 v74, v163, 8, 8
	v_cvt_f32_bf8_e32 v42, v42
	v_cvt_f32_bf8_e32 v62, v62
	v_med3_num_f32 v57, v183, s89, 0xc7600000
	v_cmp_nlg_f32_e64 s18, 0x7f800000, |v183|
	v_lshrrev_b32_e32 v47, 24, v87
	v_bfe_u32 v87, v87, 16, 8
	v_dual_mul_f32 v40, v42, v62 :: v_dual_and_b32 v73, 0xff, v163
	v_lshrrev_b32_e32 v75, 24, v163
	v_bfe_u32 v163, v163, 16, 8
	v_cvt_f32_bf8_e32 v85, v85
	v_cvt_f32_bf8_e32 v41, v41
	;; [unrolled: 1-line block ×8, first 2 shown]
	v_med3_num_f32 v62, v86, s89, 0xc7600000
	v_cmp_nlg_f32_e64 s23, 0x7f800000, |v86|
	s_wait_alu 0xf1ff
	v_cndmask_b32_e64 v183, v57, v183, s18
	v_cvt_f32_bf8_e32 v44, v44
	v_cvt_f32_bf8_e32 v45, v45
	;; [unrolled: 1-line block ×6, first 2 shown]
	v_mul_f32_e32 v85, v85, v161
	v_mul_f32_e32 v161, v41, v61
	s_delay_alu instid0(VALU_DEP_4)
	v_dual_mul_f32 v41, v43, v63 :: v_dual_mul_f32 v42, v45, v73
	v_cmp_nlg_f32_e64 s15, 0x7f800000, |v84|
	v_cndmask_b32_e64 v86, v62, v86, s23
	v_cvt_pk_bf8_f32 v96, v183, v183
	v_mul_f32_e32 v43, v46, v74
	v_med3_num_f32 v46, v84, s89, 0xc7600000
	v_cvt_f32_bf8_e32 v47, v47
	v_cvt_pk_bf8_f32 v166, v86, v86
	v_mul_f32_e32 v87, v87, v163
	v_cvt_f32_bf8_e32 v75, v75
	s_wait_alu 0xf1ff
	v_cndmask_b32_e64 v84, v46, v84, s15
	v_cmp_nlg_f32_e64 s16, 0x7f800000, |v160|
	v_mul_f32_e32 v162, v44, v72
	v_med3_num_f32 v45, v181, s89, 0xc7600000
	v_cmp_nlg_f32_e64 s14, 0x7f800000, |v181|
	v_cvt_pk_bf8_f32 v22, v84, v84
	v_lshlrev_b32_e32 v84, 8, v96
	v_and_b32_e32 v96, 0xff, v166
	v_med3_num_f32 v74, v87, s89, 0xc7600000
	v_cmp_nlg_f32_e64 s27, 0x7f800000, |v87|
	v_med3_num_f32 v58, v85, s89, 0xc7600000
	v_cmp_nlg_f32_e64 s19, 0x7f800000, |v85|
	;; [unrolled: 2-line block ×3, first 2 shown]
	s_wait_alu 0xf1ff
	v_cndmask_b32_e64 v87, v74, v87, s27
	v_med3_num_f32 v73, v43, s89, 0xc7600000
	v_cmp_nlg_f32_e64 s26, 0x7f800000, |v43|
	v_and_b32_e32 v22, 0xff, v22
	v_med3_num_f32 v59, v161, s89, 0xc7600000
	v_cvt_pk_bf8_f32 v178, v87, v87
	v_mul_f32_e32 v163, v47, v75
	v_med3_num_f32 v47, v160, s89, 0xc7600000
	v_cmp_nlg_f32_e64 s20, 0x7f800000, |v161|
	v_med3_num_f32 v44, v180, s89, 0xc7600000
	v_med3_num_f32 v56, v182, s89, 0xc7600000
	v_cmp_nlg_f32_e64 s17, 0x7f800000, |v182|
	v_cndmask_b32_e64 v160, v47, v160, s16
	v_med3_num_f32 v60, v40, s89, 0xc7600000
	v_cmp_nlg_f32_e64 s21, 0x7f800000, |v40|
	v_med3_num_f32 v63, v162, s89, 0xc7600000
	v_cmp_nlg_f32_e64 s24, 0x7f800000, |v162|
	;; [unrolled: 2-line block ×3, first 2 shown]
	v_cmp_nlg_f32_e64 s29, 0x7f800000, |v180|
	v_cndmask_b32_e64 v181, v45, v181, s14
	v_cndmask_b32_e64 v85, v58, v85, s19
	s_wait_alu 0xf1ff
	v_cndmask_b32_e64 v161, v59, v161, s20
	v_cndmask_b32_e64 v41, v61, v41, s22
	;; [unrolled: 1-line block ×3, first 2 shown]
	v_cvt_pk_bf8_f32 v23, v160, v160
	v_and_b32_e32 v160, 0xff, v178
	v_med3_num_f32 v75, v163, s89, 0xc7600000
	v_cmp_nlg_f32_e64 s28, 0x7f800000, |v163|
	v_cndmask_b32_e64 v180, v44, v180, s29
	v_cndmask_b32_e64 v182, v56, v182, s17
	;; [unrolled: 1-line block ×5, first 2 shown]
	s_wait_alu 0xf1ff
	v_cndmask_b32_e64 v163, v75, v163, s28
	v_cvt_pk_bf8_f32 v17, v181, v181
	v_cvt_pk_bf8_f32 v97, v85, v85
	;; [unrolled: 1-line block ×11, first 2 shown]
	v_lshlrev_b32_e32 v17, 8, v17
	v_and_b32_e32 v85, 0xff, v97
	v_lshlrev_b32_e32 v86, 24, v151
	v_lshlrev_b32_e32 v87, 8, v165
	;; [unrolled: 1-line block ×7, first 2 shown]
	v_perm_b32 v15, v17, v15, 0xc0c0500
	v_lshlrev_b32_e32 v17, 16, v85
	v_perm_b32 v69, v84, v69, 0xc0c0500
	v_lshlrev_b32_e32 v96, 16, v96
	;; [unrolled: 2-line block ×3, first 2 shown]
	v_perm_b32 v151, v151, v176, 0xc0c0500
	v_or3_b32 v84, v23, v22, v15
	v_or3_b32 v85, v86, v17, v69
	;; [unrolled: 1-line block ×3, first 2 shown]
	s_delay_alu instid0(VALU_DEP_4)
	v_or3_b32 v87, v161, v160, v151
	global_store_b128 v[12:13], v[84:87], off th:TH_STORE_NT
	v_add_co_u32 v12, s14, v12, v117
	s_wait_alu 0xf1ff
	v_add_co_ci_u32_e64 v13, null, 0, v13, s14
	s_wait_alu 0xfffe
	s_and_not1_b32 exec_lo, exec_lo, s42
	s_cbranch_execnz .LBB4_360
; %bb.361:                              ;   in Loop: Header=BB4_274 Depth=3
	s_or_b32 exec_lo, exec_lo, s42
.LBB4_362:                              ;   in Loop: Header=BB4_274 Depth=3
	s_wait_alu 0xfffe
	s_or_b32 exec_lo, exec_lo, s41
	v_dual_mov_b32 v14, 0 :: v_dual_and_b32 v9, 15, v3
	s_mov_b32 s14, 0
	s_mov_b32 s15, exec_lo
                                        ; implicit-def: $vgpr17
                                        ; implicit-def: $vgpr8
	s_delay_alu instid0(VALU_DEP_1) | instskip(NEXT) | instid1(VALU_DEP_1)
	v_cndmask_b32_e32 v15, v20, v9, vcc_lo
	v_cmpx_ne_u32_e32 0, v15
	s_cbranch_execz .LBB4_364
; %bb.363:                              ;   in Loop: Header=BB4_274 Depth=3
	v_cmp_lt_i32_e64 s13, 0, v21
	v_sub_nc_u32_e32 v9, v20, v9
	s_mov_b32 s14, exec_lo
	s_wait_alu 0xf1ff
	v_cndmask_b32_e64 v8, 0, v103, s13
	s_delay_alu instid0(VALU_DEP_1) | instskip(NEXT) | instid1(VALU_DEP_1)
	v_sub_nc_u32_e32 v8, v8, v21
	v_lshl_add_u32 v17, v8, 5, v19
	s_delay_alu instid0(VALU_DEP_1) | instskip(NEXT) | instid1(VALU_DEP_1)
	v_ashrrev_i32_e32 v8, 31, v17
	v_lshrrev_b32_e32 v8, 27, v8
	s_delay_alu instid0(VALU_DEP_1) | instskip(NEXT) | instid1(VALU_DEP_1)
	v_dual_cndmask_b32 v9, 0, v9 :: v_dual_add_nc_u32 v8, v17, v8
	v_add3_u32 v14, v18, v16, v9
	s_delay_alu instid0(VALU_DEP_2)
	v_ashrrev_i32_e32 v8, 5, v8
.LBB4_364:                              ;   in Loop: Header=BB4_274 Depth=3
	s_wait_alu 0xfffe
	s_or_b32 exec_lo, exec_lo, s15
	s_delay_alu instid0(SALU_CYCLE_1)
	s_and_b32 s13, s14, exec_lo
.LBB4_365:                              ;   in Loop: Header=BB4_274 Depth=3
	s_wait_alu 0xfffe
	s_or_b32 exec_lo, exec_lo, s40
	s_and_saveexec_b32 s29, s13
	s_cbranch_execz .LBB4_374
.LBB4_366:                              ;   in Loop: Header=BB4_274 Depth=3
	v_ashrrev_i32_e32 v9, 31, v15
	s_mov_b32 s40, exec_lo
	s_delay_alu instid0(VALU_DEP_1) | instskip(NEXT) | instid1(VALU_DEP_1)
	v_lshrrev_b32_e32 v9, 23, v9
	v_add_nc_u32_e32 v9, v15, v9
	s_delay_alu instid0(VALU_DEP_1) | instskip(SKIP_1) | instid1(VALU_DEP_2)
	v_ashrrev_i32_e32 v19, 9, v9
	v_ashrrev_i32_e32 v9, 31, v17
	v_sub_nc_u32_e32 v16, v19, v8
	s_delay_alu instid0(VALU_DEP_2) | instskip(NEXT) | instid1(VALU_DEP_2)
	v_lshrrev_b32_e32 v18, 27, v9
	v_cmpx_lt_i32_e32 0, v16
	s_cbranch_execz .LBB4_370
; %bb.367:                              ;   in Loop: Header=BB4_274 Depth=3
	s_delay_alu instid0(VALU_DEP_2)
	v_add_nc_u32_e32 v9, v17, v18
	s_trap 2
	ds_load_b64 v[10:11], v0
	v_lshlrev_b32_e32 v8, 9, v8
	v_add_co_u32 v20, vcc_lo, 0x1e0, v82
	v_and_b32_e32 v9, 0xffffffe0, v9
	s_wait_alu 0xfffd
	v_add_co_ci_u32_e64 v21, null, 0, v83, vcc_lo
	s_mov_b32 s41, 0
	v_sub_nc_u32_e32 v9, v17, v9
	s_delay_alu instid0(VALU_DEP_1) | instskip(NEXT) | instid1(VALU_DEP_1)
	v_add3_u32 v12, v14, v9, v8
	v_ashrrev_i32_e32 v13, 31, v12
	v_add_co_u32 v8, vcc_lo, v12, v80
	s_wait_alu 0xfffd
	s_delay_alu instid0(VALU_DEP_2)
	v_add_co_ci_u32_e64 v9, null, v13, v81, vcc_lo
	s_wait_dscnt 0x0
	v_add_co_u32 v10, vcc_lo, v10, v12
	s_wait_alu 0xfffd
	v_add_co_ci_u32_e64 v11, null, v11, v13, vcc_lo
	v_add_co_u32 v12, vcc_lo, v20, v12
	s_wait_alu 0xfffd
	v_add_co_ci_u32_e64 v13, null, v21, v13, vcc_lo
.LBB4_368:                              ;   Parent Loop BB4_47 Depth=1
                                        ;     Parent Loop BB4_271 Depth=2
                                        ;       Parent Loop BB4_274 Depth=3
                                        ; =>      This Inner Loop Header: Depth=4
	flat_load_u8 v20, v[8:9] th:TH_LOAD_NT
	flat_load_u8 v21, v[10:11] th:TH_LOAD_NT
	flat_load_u8 v22, v[8:9] offset:32 th:TH_LOAD_NT
	flat_load_u8 v23, v[10:11] offset:32 th:TH_LOAD_NT
	;; [unrolled: 1-line block ×30, first 2 shown]
	v_dual_mov_b32 v40, 0 :: v_dual_mov_b32 v41, 0
	v_dual_mov_b32 v42, 0 :: v_dual_mov_b32 v43, 0
	v_dual_mov_b32 v44, 0 :: v_dual_mov_b32 v45, 0
	v_dual_mov_b32 v46, 0 :: v_dual_mov_b32 v47, 0
	v_dual_mov_b32 v56, 0 :: v_dual_mov_b32 v57, 0
	v_dual_mov_b32 v58, 0 :: v_dual_mov_b32 v59, 0
	v_dual_mov_b32 v60, 0 :: v_dual_mov_b32 v61, 0
	v_dual_mov_b32 v62, 0 :: v_dual_mov_b32 v63, 0
	v_sub_nc_u32_e32 v16, v16, v103
	v_add_co_u32 v8, vcc_lo, v8, v117
	s_wait_alu 0xfffd
	v_add_co_ci_u32_e64 v9, null, 0, v9, vcc_lo
	v_add_co_u32 v10, vcc_lo, v10, v117
	s_wait_alu 0xfffd
	v_add_co_ci_u32_e64 v11, null, 0, v11, vcc_lo
	v_cmp_gt_i32_e32 vcc_lo, 1, v16
	s_wait_alu 0xfffe
	s_or_b32 s41, vcc_lo, s41
	s_wait_loadcnt_dscnt 0x1f1f
	v_cvt_f32_bf8_e32 v20, v20
	s_wait_loadcnt_dscnt 0x1e1e
	v_cvt_f32_bf8_e32 v21, v21
	;; [unrolled: 2-line block ×32, first 2 shown]
	v_dual_mul_f32 v20, v20, v21 :: v_dual_mul_f32 v21, v22, v23
	v_mul_f32_e32 v22, v69, v80
	v_mul_f32_e32 v23, v81, v82
	v_dual_mul_f32 v69, v83, v84 :: v_dual_mul_f32 v80, v85, v86
	v_dual_mul_f32 v81, v87, v96 :: v_dual_mul_f32 v82, v97, v151
	;; [unrolled: 1-line block ×5, first 2 shown]
	v_mul_f32_e32 v97, v180, v181
	v_mul_f32_e32 v151, v182, v183
	v_med3_num_f32 v160, v20, s89, 0xc7600000
	v_cmp_nlg_f32_e64 s28, 0x7f800000, |v20|
	v_med3_num_f32 v161, v21, s89, 0xc7600000
	v_cmp_nlg_f32_e64 s13, 0x7f800000, |v21|
	;; [unrolled: 2-line block ×16, first 2 shown]
	s_wait_alu 0xf1ff
	v_cndmask_b32_e64 v20, v160, v20, s28
	v_cndmask_b32_e64 v21, v161, v21, s13
	;; [unrolled: 1-line block ×16, first 2 shown]
	v_cvt_pk_bf8_f32 v40, v20, v20
	v_cvt_pk_bf8_f32 v41, v21, v21
	v_cvt_pk_bf8_f32 v42, v22, v22
	v_cvt_pk_bf8_f32 v43, v23, v23
	v_cvt_pk_bf8_f32 v44, v69, v69
	v_cvt_pk_bf8_f32 v45, v80, v80
	v_cvt_pk_bf8_f32 v46, v81, v81
	v_cvt_pk_bf8_f32 v47, v82, v82
	v_cvt_pk_bf8_f32 v56, v83, v83
	v_cvt_pk_bf8_f32 v57, v84, v84
	v_cvt_pk_bf8_f32 v58, v85, v85
	v_cvt_pk_bf8_f32 v59, v86, v86
	v_cvt_pk_bf8_f32 v60, v87, v87
	v_cvt_pk_bf8_f32 v61, v96, v96
	v_cvt_pk_bf8_f32 v62, v97, v97
	v_cvt_pk_bf8_f32 v63, v151, v151
	s_clause 0xf
	flat_store_b8 v[12:13], v40 offset:-480 th:TH_STORE_NT
	flat_store_b8 v[12:13], v41 offset:-448 th:TH_STORE_NT
	;; [unrolled: 1-line block ×15, first 2 shown]
	flat_store_b8 v[12:13], v63 th:TH_STORE_NT
	v_add_co_u32 v12, s13, v12, v117
	s_wait_alu 0xf1ff
	v_add_co_ci_u32_e64 v13, null, 0, v13, s13
	s_wait_alu 0xfffe
	s_and_not1_b32 exec_lo, exec_lo, s41
	s_cbranch_execnz .LBB4_368
; %bb.369:                              ;   in Loop: Header=BB4_274 Depth=3
	s_or_b32 exec_lo, exec_lo, s41
.LBB4_370:                              ;   in Loop: Header=BB4_274 Depth=3
	s_wait_alu 0xfffe
	s_or_b32 exec_lo, exec_lo, s40
	v_lshlrev_b32_e32 v8, 9, v19
	s_delay_alu instid0(VALU_DEP_1)
	v_cmp_ne_u32_e32 vcc_lo, v15, v8
	s_and_b32 exec_lo, exec_lo, vcc_lo
	s_cbranch_execz .LBB4_374
; %bb.371:                              ;   in Loop: Header=BB4_274 Depth=3
	v_add_nc_u32_e32 v9, v17, v18
	v_lshlrev_b32_e32 v10, 5, v16
	s_delay_alu instid0(VALU_DEP_2) | instskip(NEXT) | instid1(VALU_DEP_1)
	v_and_b32_e32 v9, 0xffffffe0, v9
	v_sub_nc_u32_e32 v9, v17, v9
	s_delay_alu instid0(VALU_DEP_1) | instskip(NEXT) | instid1(VALU_DEP_1)
	v_sub_nc_u32_e32 v9, v9, v10
	v_add_nc_u32_e32 v8, v8, v9
	s_delay_alu instid0(VALU_DEP_1) | instskip(NEXT) | instid1(VALU_DEP_1)
	v_sub_nc_u32_e32 v15, v15, v8
	v_cmp_lt_i32_e32 vcc_lo, 0, v15
	s_and_b32 exec_lo, exec_lo, vcc_lo
	s_cbranch_execz .LBB4_374
; %bb.372:                              ;   in Loop: Header=BB4_274 Depth=3
	s_trap 2
	ds_load_b128 v[9:12], v0
	ds_load_b64 v[16:17], v0
	v_add_nc_u32_e32 v13, v8, v14
	s_mov_b32 s14, 0
	s_delay_alu instid0(VALU_DEP_1) | instskip(SKIP_3) | instid1(VALU_DEP_2)
	v_ashrrev_i32_e32 v14, 31, v13
	s_wait_dscnt 0x1
	v_add_co_u32 v8, vcc_lo, v9, v13
	s_wait_alu 0xfffd
	v_add_co_ci_u32_e64 v9, null, v10, v14, vcc_lo
	v_add_co_u32 v10, vcc_lo, v11, v13
	s_wait_alu 0xfffd
	v_add_co_ci_u32_e64 v11, null, v12, v14, vcc_lo
	s_wait_dscnt 0x0
	v_add_co_u32 v12, vcc_lo, v16, v13
	s_wait_alu 0xfffd
	v_add_co_ci_u32_e64 v13, null, v17, v14, vcc_lo
.LBB4_373:                              ;   Parent Loop BB4_47 Depth=1
                                        ;     Parent Loop BB4_271 Depth=2
                                        ;       Parent Loop BB4_274 Depth=3
                                        ; =>      This Inner Loop Header: Depth=4
	flat_load_u8 v14, v[10:11] th:TH_LOAD_NT
	flat_load_u8 v16, v[8:9] th:TH_LOAD_NT
	v_sub_nc_u32_e32 v15, v15, v112
	v_add_co_u32 v8, vcc_lo, v8, v112
	s_wait_alu 0xfffd
	v_add_co_ci_u32_e64 v9, null, 0, v9, vcc_lo
	v_add_co_u32 v10, vcc_lo, v10, v112
	s_wait_alu 0xfffd
	v_add_co_ci_u32_e64 v11, null, 0, v11, vcc_lo
	v_cmp_gt_i32_e32 vcc_lo, 1, v15
	s_wait_alu 0xfffe
	s_or_b32 s14, vcc_lo, s14
	s_wait_loadcnt_dscnt 0x101
	v_cvt_f32_bf8_e32 v14, v14
	s_wait_loadcnt_dscnt 0x0
	v_cvt_f32_bf8_e32 v16, v16
	s_delay_alu instid0(VALU_DEP_1) | instskip(NEXT) | instid1(VALU_DEP_1)
	v_dual_mov_b32 v17, 0 :: v_dual_mul_f32 v14, v14, v16
	v_med3_num_f32 v16, v14, s89, 0xc7600000
	v_cmp_nlg_f32_e64 s13, 0x7f800000, |v14|
	s_wait_alu 0xf1ff
	s_delay_alu instid0(VALU_DEP_1) | instskip(NEXT) | instid1(VALU_DEP_1)
	v_cndmask_b32_e64 v14, v16, v14, s13
	v_cvt_pk_bf8_f32 v17, v14, v14
	flat_store_b8 v[12:13], v17 th:TH_STORE_NT
	v_add_co_u32 v12, s13, v12, v112
	s_wait_alu 0xf1ff
	v_add_co_ci_u32_e64 v13, null, 0, v13, s13
	s_wait_alu 0xfffe
	s_and_not1_b32 exec_lo, exec_lo, s14
	s_cbranch_execnz .LBB4_373
.LBB4_374:                              ;   in Loop: Header=BB4_274 Depth=3
	s_wait_alu 0xfffe
	s_or_b32 exec_lo, exec_lo, s29
	v_cmp_lt_i32_e64 s13, 0, v3
	s_and_saveexec_b32 s14, s2
	s_cbranch_execz .LBB4_349
.LBB4_375:                              ;   in Loop: Header=BB4_274 Depth=3
	s_and_saveexec_b32 s15, s3
	s_wait_alu 0xfffe
	s_xor_b32 s15, exec_lo, s15
	s_cbranch_execz .LBB4_390
; %bb.376:                              ;   in Loop: Header=BB4_274 Depth=3
	s_and_saveexec_b32 s16, s6
	s_cbranch_execz .LBB4_389
; %bb.377:                              ;   in Loop: Header=BB4_274 Depth=3
	s_mov_b32 s18, exec_lo
	s_mov_b32 s17, exec_lo
	s_wait_alu 0xfffe
	v_mbcnt_lo_u32_b32 v3, s18, 0
	s_wait_storecnt 0x0
	s_wait_loadcnt_dscnt 0x0
	global_inv scope:SCOPE_DEV
	v_cmpx_eq_u32_e32 0, v3
	s_cbranch_execz .LBB4_379
; %bb.378:                              ;   in Loop: Header=BB4_274 Depth=3
	s_bcnt1_i32_b32 s18, s18
	s_wait_alu 0xfffe
	v_dual_mov_b32 v9, v2 :: v_dual_mov_b32 v8, s18
	s_wait_loadcnt 0x0
	ds_add_u64 v0, v[8:9]
	s_trap 2
.LBB4_379:                              ;   in Loop: Header=BB4_274 Depth=3
	s_or_b32 exec_lo, exec_lo, s17
	s_trap 2
	ds_load_b64 v[8:9], v0
	s_wait_dscnt 0x0
	global_inv scope:SCOPE_SE
	v_add_co_u32 v38, vcc_lo, v38, v103
	s_wait_alu 0xfffd
	v_add_co_ci_u32_e64 v39, null, 0, v39, vcc_lo
	s_mov_b32 s17, exec_lo
	v_cmpx_lt_u64_e64 v[8:9], v[38:39]
	s_cbranch_execz .LBB4_388
; %bb.380:                              ;   in Loop: Header=BB4_274 Depth=3
	s_mov_b32 s18, 0
	s_mov_b32 s21, 0
                                        ; implicit-def: $sgpr19
                                        ; implicit-def: $sgpr20
	s_branch .LBB4_382
.LBB4_381:                              ;   in Loop: Header=BB4_382 Depth=4
	s_wait_alu 0xfffe
	s_or_b32 exec_lo, exec_lo, s23
	s_delay_alu instid0(SALU_CYCLE_1)
	s_and_b32 s22, exec_lo, s24
	s_wait_alu 0xfffe
	s_or_b32 s18, s22, s18
	s_and_not1_b32 s19, s19, exec_lo
	s_and_b32 s22, s20, exec_lo
	s_wait_alu 0xfffe
	s_or_b32 s19, s19, s22
	s_and_not1_b32 exec_lo, exec_lo, s18
	s_cbranch_execz .LBB4_386
.LBB4_382:                              ;   Parent Loop BB4_47 Depth=1
                                        ;     Parent Loop BB4_271 Depth=2
                                        ;       Parent Loop BB4_274 Depth=3
                                        ; =>      This Inner Loop Header: Depth=4
	s_wait_alu 0xfffe
	s_add_co_i32 s21, s21, 1
	s_wait_alu 0xfffe
	s_cmp_lg_u32 s21, 0x2710
	s_cselect_b32 s22, -1, 0
	s_wait_alu 0xfffe
	s_and_b32 vcc_lo, exec_lo, s22
	s_wait_alu 0xfffe
	s_cbranch_vccz .LBB4_384
; %bb.383:                              ;   in Loop: Header=BB4_382 Depth=4
	s_mov_b32 s24, -1
	s_or_b32 s20, s20, exec_lo
	s_and_saveexec_b32 s23, s22
	s_cbranch_execz .LBB4_381
	s_branch .LBB4_385
.LBB4_384:                              ;   in Loop: Header=BB4_382 Depth=4
	s_trap 2
	ds_load_b64 v[8:9], v0
	s_and_not1_b32 s22, s22, exec_lo
	s_mov_b32 s21, 0
	s_wait_loadcnt_dscnt 0x0
	flat_load_b32 v3, v[8:9] scope:SCOPE_SYS
	s_wait_loadcnt_dscnt 0x0
	global_inv scope:SCOPE_SYS
	v_cmp_eq_u32_e32 vcc_lo, 0, v3
	s_and_b32 s23, vcc_lo, exec_lo
	s_wait_alu 0xfffe
	s_or_b32 s22, s22, s23
	s_mov_b32 s24, -1
	s_or_b32 s20, s20, exec_lo
	s_wait_alu 0xfffe
	s_and_saveexec_b32 s23, s22
	s_cbranch_execz .LBB4_381
.LBB4_385:                              ;   in Loop: Header=BB4_382 Depth=4
	s_sleep 1
	s_trap 2
	ds_load_b64 v[8:9], v0
	s_wait_dscnt 0x0
	global_inv scope:SCOPE_SE
	s_wait_alu 0xfffe
	s_and_not1_b32 s20, s20, exec_lo
	v_cmp_ge_u64_e32 vcc_lo, v[8:9], v[38:39]
	s_or_not1_b32 s24, vcc_lo, exec_lo
	s_branch .LBB4_381
.LBB4_386:                              ;   in Loop: Header=BB4_274 Depth=3
	s_or_b32 exec_lo, exec_lo, s18
	s_wait_alu 0xfffe
	s_and_saveexec_b32 s18, s19
	s_wait_alu 0xfffe
	s_xor_b32 s18, exec_lo, s18
	s_cbranch_execz .LBB4_388
; %bb.387:                              ;   in Loop: Header=BB4_274 Depth=3
	ds_store_b32 v0, v113
	s_trap 2
.LBB4_388:                              ;   in Loop: Header=BB4_274 Depth=3
	s_wait_alu 0xfffe
	s_or_b32 exec_lo, exec_lo, s17
	;;#ASMSTART
	s_wakeup
	;;#ASMEND
.LBB4_389:                              ;   in Loop: Header=BB4_274 Depth=3
	s_wait_alu 0xfffe
	s_or_b32 exec_lo, exec_lo, s16
.LBB4_390:                              ;   in Loop: Header=BB4_274 Depth=3
	s_wait_alu 0xfffe
	s_and_not1_saveexec_b32 s15, s15
	s_cbranch_execz .LBB4_392
; %bb.391:                              ;   in Loop: Header=BB4_274 Depth=3
	s_wait_storecnt 0x0
	s_wait_loadcnt_dscnt 0x0
	global_inv scope:SCOPE_DEV
	s_barrier_signal -1
	s_barrier_wait -1
.LBB4_392:                              ;   in Loop: Header=BB4_274 Depth=3
	s_wait_alu 0xfffe
	s_or_b32 exec_lo, exec_lo, s15
	s_delay_alu instid0(SALU_CYCLE_1)
	s_or_b32 exec_lo, exec_lo, s14
                                        ; implicit-def: $vgpr3
	s_and_saveexec_b32 s14, s10
	s_wait_alu 0xfffe
	s_xor_b32 s14, exec_lo, s14
	s_cbranch_execnz .LBB4_350
.LBB4_393:                              ;   in Loop: Header=BB4_274 Depth=3
	s_wait_alu 0xfffe
	s_and_not1_saveexec_b32 s13, s14
	s_cbranch_execz .LBB4_412
.LBB4_394:                              ;   in Loop: Header=BB4_274 Depth=3
	s_and_saveexec_b32 s14, s3
	s_wait_alu 0xfffe
	s_xor_b32 s14, exec_lo, s14
	s_cbranch_execz .LBB4_409
; %bb.395:                              ;   in Loop: Header=BB4_274 Depth=3
	s_and_saveexec_b32 s15, s6
	s_cbranch_execz .LBB4_408
; %bb.396:                              ;   in Loop: Header=BB4_274 Depth=3
	s_mov_b32 s17, exec_lo
	s_mov_b32 s16, exec_lo
	s_wait_alu 0xfffe
	v_mbcnt_lo_u32_b32 v3, s17, 0
	;;#ASMSTART
	s_waitcnt lgkmcnt(0) vmcnt(0)
	;;#ASMEND
	s_delay_alu instid0(VALU_DEP_1)
	v_cmpx_eq_u32_e32 0, v3
	s_cbranch_execz .LBB4_398
; %bb.397:                              ;   in Loop: Header=BB4_274 Depth=3
	s_bcnt1_i32_b32 s17, s17
	s_wait_alu 0xfffe
	v_dual_mov_b32 v9, v2 :: v_dual_mov_b32 v8, s17
	s_wait_storecnt 0x0
	s_wait_loadcnt_dscnt 0x0
	ds_add_u64 v0, v[8:9]
	s_trap 2
.LBB4_398:                              ;   in Loop: Header=BB4_274 Depth=3
	s_or_b32 exec_lo, exec_lo, s16
	s_trap 2
	ds_load_b64 v[8:9], v0
	s_wait_dscnt 0x0
	global_inv scope:SCOPE_SE
	v_add_co_u32 v38, vcc_lo, v38, v103
	s_wait_alu 0xfffd
	v_add_co_ci_u32_e64 v39, null, 0, v39, vcc_lo
	s_mov_b32 s16, exec_lo
	v_cmpx_lt_u64_e64 v[8:9], v[38:39]
	s_cbranch_execz .LBB4_407
; %bb.399:                              ;   in Loop: Header=BB4_274 Depth=3
	s_mov_b32 s17, 0
	s_mov_b32 s20, 0
                                        ; implicit-def: $sgpr18
                                        ; implicit-def: $sgpr19
	s_branch .LBB4_401
.LBB4_400:                              ;   in Loop: Header=BB4_401 Depth=4
	s_wait_alu 0xfffe
	s_or_b32 exec_lo, exec_lo, s22
	s_delay_alu instid0(SALU_CYCLE_1)
	s_and_b32 s21, exec_lo, s23
	s_wait_alu 0xfffe
	s_or_b32 s17, s21, s17
	s_and_not1_b32 s18, s18, exec_lo
	s_and_b32 s21, s19, exec_lo
	s_wait_alu 0xfffe
	s_or_b32 s18, s18, s21
	s_and_not1_b32 exec_lo, exec_lo, s17
	s_cbranch_execz .LBB4_405
.LBB4_401:                              ;   Parent Loop BB4_47 Depth=1
                                        ;     Parent Loop BB4_271 Depth=2
                                        ;       Parent Loop BB4_274 Depth=3
                                        ; =>      This Inner Loop Header: Depth=4
	s_wait_alu 0xfffe
	s_add_co_i32 s20, s20, 1
	s_wait_alu 0xfffe
	s_cmp_lg_u32 s20, 0x2710
	s_cselect_b32 s21, -1, 0
	s_wait_alu 0xfffe
	s_and_b32 vcc_lo, exec_lo, s21
	s_wait_alu 0xfffe
	s_cbranch_vccz .LBB4_403
; %bb.402:                              ;   in Loop: Header=BB4_401 Depth=4
	s_mov_b32 s23, -1
	s_or_b32 s19, s19, exec_lo
	s_and_saveexec_b32 s22, s21
	s_cbranch_execz .LBB4_400
	s_branch .LBB4_404
.LBB4_403:                              ;   in Loop: Header=BB4_401 Depth=4
	s_trap 2
	ds_load_b64 v[8:9], v0
	s_and_not1_b32 s21, s21, exec_lo
	s_mov_b32 s20, 0
	s_wait_storecnt 0x0
	s_wait_loadcnt_dscnt 0x0
	flat_load_b32 v3, v[8:9] scope:SCOPE_SYS
	s_wait_loadcnt_dscnt 0x0
	global_inv scope:SCOPE_SYS
	v_cmp_eq_u32_e32 vcc_lo, 0, v3
	s_and_b32 s22, vcc_lo, exec_lo
	s_wait_alu 0xfffe
	s_or_b32 s21, s21, s22
	s_mov_b32 s23, -1
	s_or_b32 s19, s19, exec_lo
	s_wait_alu 0xfffe
	s_and_saveexec_b32 s22, s21
	s_cbranch_execz .LBB4_400
.LBB4_404:                              ;   in Loop: Header=BB4_401 Depth=4
	s_sleep 1
	s_trap 2
	ds_load_b64 v[8:9], v0
	s_wait_dscnt 0x0
	global_inv scope:SCOPE_SE
	s_wait_alu 0xfffe
	s_and_not1_b32 s19, s19, exec_lo
	v_cmp_ge_u64_e32 vcc_lo, v[8:9], v[38:39]
	s_or_not1_b32 s23, vcc_lo, exec_lo
	s_branch .LBB4_400
.LBB4_405:                              ;   in Loop: Header=BB4_274 Depth=3
	s_or_b32 exec_lo, exec_lo, s17
	s_wait_alu 0xfffe
	s_and_saveexec_b32 s17, s18
	s_wait_alu 0xfffe
	s_xor_b32 s17, exec_lo, s17
	s_cbranch_execz .LBB4_407
; %bb.406:                              ;   in Loop: Header=BB4_274 Depth=3
	ds_store_b32 v0, v113
	s_trap 2
.LBB4_407:                              ;   in Loop: Header=BB4_274 Depth=3
	s_wait_alu 0xfffe
	s_or_b32 exec_lo, exec_lo, s16
	;;#ASMSTART
	s_wakeup
	;;#ASMEND
.LBB4_408:                              ;   in Loop: Header=BB4_274 Depth=3
	s_wait_alu 0xfffe
	s_or_b32 exec_lo, exec_lo, s15
.LBB4_409:                              ;   in Loop: Header=BB4_274 Depth=3
	s_wait_alu 0xfffe
	s_and_not1_saveexec_b32 s14, s14
	s_cbranch_execz .LBB4_411
; %bb.410:                              ;   in Loop: Header=BB4_274 Depth=3
	;;#ASMSTART
	s_waitcnt lgkmcnt(0) vmcnt(0)
	;;#ASMEND
	s_barrier_signal -1
	s_barrier_wait -1
.LBB4_411:                              ;   in Loop: Header=BB4_274 Depth=3
	s_wait_alu 0xfffe
	s_or_b32 exec_lo, exec_lo, s14
	v_and_b32_e32 v3, 16, v30
.LBB4_412:                              ;   in Loop: Header=BB4_274 Depth=3
	s_wait_alu 0xfffe
	s_or_b32 exec_lo, exec_lo, s13
	s_delay_alu instid0(VALU_DEP_1)
	v_cmp_ne_u32_e32 vcc_lo, 0, v3
	s_xor_b32 s13, s4, -1
	s_wait_alu 0xfffe
	s_and_b32 s14, vcc_lo, s13
	s_wait_alu 0xfffe
	s_and_saveexec_b32 s13, s14
	s_cbranch_execz .LBB4_414
; %bb.413:                              ;   in Loop: Header=BB4_274 Depth=3
	global_wb scope:SCOPE_SYS
	s_wait_storecnt 0x0
	s_wait_loadcnt_dscnt 0x0
	flat_store_b32 v[36:37], v113 scope:SCOPE_SYS
.LBB4_414:                              ;   in Loop: Header=BB4_274 Depth=3
	s_wait_alu 0xfffe
	s_or_b32 exec_lo, exec_lo, s13
	v_and_b32_e32 v3, 48, v30
	s_mov_b32 s13, exec_lo
	s_delay_alu instid0(VALU_DEP_1)
	v_cmpx_ne_u32_e32 0, v3
	s_cbranch_execz .LBB4_273
; %bb.415:                              ;   in Loop: Header=BB4_274 Depth=3
	v_add_co_u32 v64, vcc_lo, v64, 2
	s_wait_alu 0xfffd
	v_add_co_ci_u32_e64 v65, null, 0, v65, vcc_lo
	global_wb scope:SCOPE_SYS
	s_wait_storecnt 0x0
	s_wait_loadcnt_dscnt 0x0
	flat_store_b64 v[32:33], v[64:65] scope:SCOPE_SYS
	s_branch .LBB4_273
.LBB4_416:                              ;   in Loop: Header=BB4_271 Depth=2
	s_or_b32 exec_lo, exec_lo, s37
.LBB4_417:                              ;   in Loop: Header=BB4_271 Depth=2
	s_wait_alu 0xfffe
	s_or_b32 exec_lo, exec_lo, s36
	s_delay_alu instid0(SALU_CYCLE_1)
	s_mov_b32 s14, exec_lo
	v_cmpx_gt_i32_e32 2, v3
	s_cbranch_execz .LBB4_270
; %bb.418:                              ;   in Loop: Header=BB4_271 Depth=2
	v_cmp_eq_u32_e64 s16, 0, v3
	s_mov_b32 s15, 0
	s_branch .LBB4_420
.LBB4_419:                              ;   in Loop: Header=BB4_420 Depth=3
	s_wait_alu 0xfffe
	s_or_b32 exec_lo, exec_lo, s13
	v_add_nc_u32_e32 v99, v68, v99
	s_mov_b32 s16, 0
	s_and_not1_b32 exec_lo, exec_lo, s15
	s_cbranch_execz .LBB4_269
.LBB4_420:                              ;   Parent Loop BB4_47 Depth=1
                                        ;     Parent Loop BB4_271 Depth=2
                                        ; =>    This Loop Header: Depth=3
                                        ;         Child Loop BB4_426 Depth 4
                                        ;         Child Loop BB4_454 Depth 4
	;; [unrolled: 1-line block ×3, first 2 shown]
	s_delay_alu instid0(VALU_DEP_1) | instskip(SKIP_2) | instid1(VALU_DEP_2)
	v_sub_nc_u32_e32 v3, v98, v99
	v_and_b32_e32 v8, 12, v30
	s_mov_b32 s17, exec_lo
	v_min_i32_e32 v68, v68, v3
	s_delay_alu instid0(VALU_DEP_2)
	v_cmpx_ne_u32_e32 0, v8
	s_cbranch_execz .LBB4_446
; %bb.421:                              ;   in Loop: Header=BB4_420 Depth=3
	v_and_b32_e32 v3, 8, v30
	s_mov_b32 s18, exec_lo
	s_delay_alu instid0(VALU_DEP_1)
	v_add_co_u32 v10, vcc_lo, v48, v3
	s_wait_alu 0xfffd
	v_add_co_ci_u32_e64 v11, null, 0, v49, vcc_lo
	v_add_co_u32 v8, vcc_lo, v64, 2
	s_wait_alu 0xfffd
	v_add_co_ci_u32_e64 v9, null, 0, v65, vcc_lo
	s_delay_alu instid0(VALU_DEP_1)
	v_cmpx_lt_u64_e64 v[10:11], v[8:9]
	s_cbranch_execz .LBB4_433
; %bb.422:                              ;   in Loop: Header=BB4_420 Depth=3
	v_and_b32_e32 v10, 64, v30
	s_mov_b32 s19, 0
	s_mov_b32 s23, 0
                                        ; implicit-def: $sgpr20
                                        ; implicit-def: $sgpr21
                                        ; implicit-def: $sgpr22
	s_delay_alu instid0(VALU_DEP_1)
	v_cmp_eq_u32_e32 vcc_lo, 0, v10
	s_branch .LBB4_426
.LBB4_423:                              ;   in Loop: Header=BB4_426 Depth=4
	v_add_co_u32 v11, s13, v48, v3
	s_wait_alu 0xf1ff
	v_add_co_ci_u32_e64 v12, null, 0, v49, s13
	s_or_b32 s26, s26, exec_lo
	v_cmp_ge_u64_e64 s13, v[11:12], v[8:9]
	s_or_not1_b32 s25, s13, exec_lo
.LBB4_424:                              ;   in Loop: Header=BB4_426 Depth=4
	s_wait_alu 0xfffe
	s_or_b32 exec_lo, exec_lo, s28
	s_delay_alu instid0(SALU_CYCLE_1)
	s_and_not1_b32 s13, s22, exec_lo
	s_and_b32 s22, s26, exec_lo
	s_and_not1_b32 s21, s21, exec_lo
	s_and_b32 s25, s25, exec_lo
	s_wait_alu 0xfffe
	s_or_b32 s22, s13, s22
	s_or_b32 s21, s21, s25
.LBB4_425:                              ;   in Loop: Header=BB4_426 Depth=4
	s_wait_alu 0xfffe
	s_or_b32 exec_lo, exec_lo, s24
	s_delay_alu instid0(SALU_CYCLE_1)
	s_and_b32 s13, exec_lo, s21
	s_wait_alu 0xfffe
	s_or_b32 s19, s13, s19
	s_and_not1_b32 s13, s20, exec_lo
	s_and_b32 s20, s22, exec_lo
	s_wait_alu 0xfffe
	s_or_b32 s20, s13, s20
	s_and_not1_b32 exec_lo, exec_lo, s19
	s_cbranch_execz .LBB4_430
.LBB4_426:                              ;   Parent Loop BB4_47 Depth=1
                                        ;     Parent Loop BB4_271 Depth=2
                                        ;       Parent Loop BB4_420 Depth=3
                                        ; =>      This Inner Loop Header: Depth=4
	s_sleep 1
	flat_load_b64 v[48:49], v[32:33] scope:SCOPE_SYS
	s_wait_loadcnt_dscnt 0x0
	global_inv scope:SCOPE_SYS
	s_or_b32 s22, s22, exec_lo
	s_or_b32 s21, s21, exec_lo
                                        ; implicit-def: $vgpr10
	s_and_saveexec_b32 s24, vcc_lo
	s_cbranch_execz .LBB4_425
; %bb.427:                              ;   in Loop: Header=BB4_426 Depth=4
	s_wait_alu 0xfffe
	s_cmp_lt_i32 s23, 0x270f
	s_mov_b32 s25, -1
	s_cselect_b32 s27, -1, 0
	s_cmp_gt_i32 s23, 0x270e
	s_cbranch_scc0 .LBB4_429
; %bb.428:                              ;   in Loop: Header=BB4_426 Depth=4
	s_trap 2
	ds_load_b64 v[10:11], v0
	s_wait_alu 0xfffe
	s_and_not1_b32 s23, s27, exec_lo
	s_mov_b32 s26, 0
	s_wait_storecnt 0x0
	s_wait_loadcnt_dscnt 0x0
	flat_load_b32 v10, v[10:11] scope:SCOPE_SYS
	s_wait_loadcnt_dscnt 0x0
	global_inv scope:SCOPE_SYS
	v_cmp_eq_u32_e64 s13, 0, v10
	s_and_b32 s13, s13, exec_lo
	s_wait_alu 0xfffe
	s_or_b32 s27, s23, s13
	s_mov_b32 s23, 0
	s_wait_alu 0xfffe
	s_and_saveexec_b32 s28, s27
	s_cbranch_execz .LBB4_424
	s_branch .LBB4_423
.LBB4_429:                              ;   in Loop: Header=BB4_426 Depth=4
	s_add_co_i32 s23, s23, 1
	s_mov_b32 s26, -1
                                        ; implicit-def: $vgpr10
	s_wait_alu 0xfffe
	s_and_saveexec_b32 s28, s27
	s_cbranch_execz .LBB4_424
	s_branch .LBB4_423
.LBB4_430:                              ;   in Loop: Header=BB4_420 Depth=3
	s_or_b32 exec_lo, exec_lo, s19
	s_wait_alu 0xfffe
	s_xor_b32 s13, s20, -1
	s_wait_alu 0xfffe
	s_and_saveexec_b32 s19, s13
	s_wait_alu 0xfffe
	s_xor_b32 s13, exec_lo, s19
	s_cbranch_execz .LBB4_432
; %bb.431:                              ;   in Loop: Header=BB4_420 Depth=3
	v_or_b32_e32 v30, 64, v30
	s_wait_loadcnt 0x0
	s_wait_storecnt 0x0
	ds_store_b32 v0, v10
	s_trap 2
.LBB4_432:                              ;   in Loop: Header=BB4_420 Depth=3
	s_wait_alu 0xfffe
	s_or_b32 exec_lo, exec_lo, s13
.LBB4_433:                              ;   in Loop: Header=BB4_420 Depth=3
	s_wait_alu 0xfffe
	s_or_b32 exec_lo, exec_lo, s18
	v_and_b32_e32 v10, 0x108, v30
	;;#ASMSTART
	s_wakeup
	;;#ASMEND
	s_delay_alu instid0(VALU_DEP_1)
	v_cmp_ne_u32_e32 vcc_lo, 0x108, v10
                                        ; implicit-def: $vgpr10_vgpr11
	s_and_saveexec_b32 s13, vcc_lo
	s_wait_alu 0xfffe
	s_xor_b32 s13, exec_lo, s13
; %bb.434:                              ;   in Loop: Header=BB4_420 Depth=3
	v_dual_mov_b32 v11, v2 :: v_dual_and_b32 v10, 7, v64
                                        ; implicit-def: $vgpr64_vgpr65
; %bb.435:                              ;   in Loop: Header=BB4_420 Depth=3
	s_wait_alu 0xfffe
	s_and_not1_saveexec_b32 s13, s13
	s_cbranch_execz .LBB4_437
; %bb.436:                              ;   in Loop: Header=BB4_420 Depth=3
	v_dual_mov_b32 v11, v2 :: v_dual_and_b32 v10, 7, v64
	v_ashrrev_i32_e32 v69, 31, v68
	s_delay_alu instid0(VALU_DEP_2)
	v_mad_co_u64_u32 v[12:13], null, v10, 24, v[6:7]
	flat_store_b64 v[12:13], v[68:69] offset:8
.LBB4_437:                              ;   in Loop: Header=BB4_420 Depth=3
	s_wait_alu 0xfffe
	s_or_b32 exec_lo, exec_lo, s13
	v_and_b32_e32 v12, 0x100, v30
	s_mov_b32 s13, -1
	s_delay_alu instid0(VALU_DEP_1)
	v_cmp_ne_u32_e32 vcc_lo, 0, v12
                                        ; implicit-def: $vgpr12_vgpr13
	s_and_saveexec_b32 s18, vcc_lo
	s_cbranch_execz .LBB4_441
; %bb.438:                              ;   in Loop: Header=BB4_420 Depth=3
	v_mad_co_u64_u32 v[14:15], null, v10, 24, v[6:7]
	s_delay_alu instid0(VALU_DEP_1) | instskip(NEXT) | instid1(VALU_DEP_1)
	v_mov_b32_e32 v12, v15
	v_mad_co_u64_u32 v[12:13], null, v11, 24, v[12:13]
	s_delay_alu instid0(VALU_DEP_1)
	v_mov_b32_e32 v15, v12
	flat_load_b32 v12, v[14:15]
	s_wait_loadcnt_dscnt 0x0
	v_cmp_eq_u32_e64 s13, 1, v12
	v_cmp_ne_u32_e32 vcc_lo, 1, v12
                                        ; implicit-def: $vgpr12_vgpr13
	s_wait_alu 0xfffe
	s_and_saveexec_b32 s19, s13
	s_cbranch_execz .LBB4_440
; %bb.439:                              ;   in Loop: Header=BB4_420 Depth=3
	flat_load_b32 v12, v[14:15] offset:4 scope:SCOPE_SYS
	s_wait_loadcnt_dscnt 0x0
	v_ashrrev_i32_e32 v13, 31, v12
.LBB4_440:                              ;   in Loop: Header=BB4_420 Depth=3
	s_wait_alu 0xfffe
	s_or_b32 exec_lo, exec_lo, s19
	s_delay_alu instid0(SALU_CYCLE_1)
	s_or_not1_b32 s13, vcc_lo, exec_lo
.LBB4_441:                              ;   in Loop: Header=BB4_420 Depth=3
	s_wait_alu 0xfffe
	s_or_b32 exec_lo, exec_lo, s18
	s_and_saveexec_b32 s18, s13
; %bb.442:                              ;   in Loop: Header=BB4_420 Depth=3
	v_mul_lo_u32 v11, v11, v100
	v_mul_lo_u32 v14, v10, v102
	v_mad_co_u64_u32 v[12:13], null, v10, v100, 0
	s_delay_alu instid0(VALU_DEP_1)
	v_add3_u32 v13, v13, v14, v11
; %bb.443:                              ;   in Loop: Header=BB4_420 Depth=3
	s_wait_alu 0xfffe
	s_or_b32 exec_lo, exec_lo, s18
	v_cmp_eq_u32_e32 vcc_lo, 0, v3
	v_and_b32_e32 v14, 0x2000, v30
	s_mov_b32 s13, exec_lo
	s_wait_alu 0xfffd
	v_cndmask_b32_e32 v3, 0xc8, v114, vcc_lo
	v_add_co_u32 v10, vcc_lo, v34, v12
	s_wait_alu 0xfffd
	v_add_co_ci_u32_e64 v11, null, v35, v13, vcc_lo
	s_delay_alu instid0(VALU_DEP_3)
	v_add_nc_u32_e32 v3, v0, v3
	ds_store_b64 v3, v[10:11] offset:584
	v_cmpx_ne_u32_e32 0, v14
	s_cbranch_execz .LBB4_445
; %bb.444:                              ;   in Loop: Header=BB4_420 Depth=3
	ds_load_b64 v[10:11], v0 offset:872
	s_wait_dscnt 0x0
	v_add_co_u32 v10, vcc_lo, v10, 1
	s_wait_alu 0xfffd
	v_add_co_ci_u32_e64 v11, null, 0, v11, vcc_lo
	ds_store_b64 v0, v[10:11] offset:872
.LBB4_445:                              ;   in Loop: Header=BB4_420 Depth=3
	s_wait_alu 0xfffe
	s_or_b32 exec_lo, exec_lo, s13
	v_dual_mov_b32 v65, v9 :: v_dual_mov_b32 v64, v8
.LBB4_446:                              ;   in Loop: Header=BB4_420 Depth=3
	s_wait_alu 0xfffe
	s_or_b32 exec_lo, exec_lo, s17
	s_xor_b32 s13, s16, -1
	s_wait_alu 0xfffe
	s_and_b32 s13, exec_lo, s13
	s_wait_alu 0xfffe
	s_or_b32 s15, s13, s15
	s_and_saveexec_b32 s13, s2
	s_cbranch_execz .LBB4_465
; %bb.447:                              ;   in Loop: Header=BB4_420 Depth=3
	s_and_saveexec_b32 s16, s3
	s_wait_alu 0xfffe
	s_xor_b32 s16, exec_lo, s16
	s_cbranch_execz .LBB4_462
; %bb.448:                              ;   in Loop: Header=BB4_420 Depth=3
	s_and_saveexec_b32 s17, s6
	s_cbranch_execz .LBB4_461
; %bb.449:                              ;   in Loop: Header=BB4_420 Depth=3
	s_mov_b32 s19, exec_lo
	s_mov_b32 s18, exec_lo
	s_wait_alu 0xfffe
	v_mbcnt_lo_u32_b32 v3, s19, 0
	s_wait_storecnt 0x0
	s_wait_loadcnt_dscnt 0x0
	global_inv scope:SCOPE_DEV
	v_cmpx_eq_u32_e32 0, v3
	s_cbranch_execz .LBB4_451
; %bb.450:                              ;   in Loop: Header=BB4_420 Depth=3
	s_bcnt1_i32_b32 s19, s19
	s_wait_alu 0xfffe
	v_dual_mov_b32 v9, v2 :: v_dual_mov_b32 v8, s19
	s_wait_loadcnt 0x0
	ds_add_u64 v0, v[8:9]
	s_trap 2
.LBB4_451:                              ;   in Loop: Header=BB4_420 Depth=3
	s_or_b32 exec_lo, exec_lo, s18
	s_trap 2
	ds_load_b64 v[8:9], v0
	s_wait_dscnt 0x0
	global_inv scope:SCOPE_SE
	v_add_co_u32 v38, vcc_lo, v38, v103
	s_wait_alu 0xfffd
	v_add_co_ci_u32_e64 v39, null, 0, v39, vcc_lo
	s_mov_b32 s18, exec_lo
	v_cmpx_lt_u64_e64 v[8:9], v[38:39]
	s_cbranch_execz .LBB4_460
; %bb.452:                              ;   in Loop: Header=BB4_420 Depth=3
	s_mov_b32 s19, 0
	s_mov_b32 s22, 0
                                        ; implicit-def: $sgpr20
                                        ; implicit-def: $sgpr21
	s_branch .LBB4_454
.LBB4_453:                              ;   in Loop: Header=BB4_454 Depth=4
	s_wait_alu 0xfffe
	s_or_b32 exec_lo, exec_lo, s24
	s_delay_alu instid0(SALU_CYCLE_1)
	s_and_b32 s23, exec_lo, s25
	s_wait_alu 0xfffe
	s_or_b32 s19, s23, s19
	s_and_not1_b32 s20, s20, exec_lo
	s_and_b32 s23, s21, exec_lo
	s_wait_alu 0xfffe
	s_or_b32 s20, s20, s23
	s_and_not1_b32 exec_lo, exec_lo, s19
	s_cbranch_execz .LBB4_458
.LBB4_454:                              ;   Parent Loop BB4_47 Depth=1
                                        ;     Parent Loop BB4_271 Depth=2
                                        ;       Parent Loop BB4_420 Depth=3
                                        ; =>      This Inner Loop Header: Depth=4
	s_wait_alu 0xfffe
	s_add_co_i32 s22, s22, 1
	s_wait_alu 0xfffe
	s_cmp_lg_u32 s22, 0x2710
	s_cselect_b32 s23, -1, 0
	s_wait_alu 0xfffe
	s_and_b32 vcc_lo, exec_lo, s23
	s_wait_alu 0xfffe
	s_cbranch_vccz .LBB4_456
; %bb.455:                              ;   in Loop: Header=BB4_454 Depth=4
	s_mov_b32 s25, -1
	s_or_b32 s21, s21, exec_lo
	s_and_saveexec_b32 s24, s23
	s_cbranch_execz .LBB4_453
	s_branch .LBB4_457
.LBB4_456:                              ;   in Loop: Header=BB4_454 Depth=4
	s_trap 2
	ds_load_b64 v[8:9], v0
	s_and_not1_b32 s23, s23, exec_lo
	s_mov_b32 s22, 0
	s_wait_loadcnt_dscnt 0x0
	flat_load_b32 v3, v[8:9] scope:SCOPE_SYS
	s_wait_loadcnt_dscnt 0x0
	global_inv scope:SCOPE_SYS
	v_cmp_eq_u32_e32 vcc_lo, 0, v3
	s_and_b32 s24, vcc_lo, exec_lo
	s_wait_alu 0xfffe
	s_or_b32 s23, s23, s24
	s_mov_b32 s25, -1
	s_or_b32 s21, s21, exec_lo
	s_wait_alu 0xfffe
	s_and_saveexec_b32 s24, s23
	s_cbranch_execz .LBB4_453
.LBB4_457:                              ;   in Loop: Header=BB4_454 Depth=4
	s_sleep 1
	s_trap 2
	ds_load_b64 v[8:9], v0
	s_wait_dscnt 0x0
	global_inv scope:SCOPE_SE
	s_wait_alu 0xfffe
	s_and_not1_b32 s21, s21, exec_lo
	v_cmp_ge_u64_e32 vcc_lo, v[8:9], v[38:39]
	s_or_not1_b32 s25, vcc_lo, exec_lo
	s_branch .LBB4_453
.LBB4_458:                              ;   in Loop: Header=BB4_420 Depth=3
	s_or_b32 exec_lo, exec_lo, s19
	s_wait_alu 0xfffe
	s_and_saveexec_b32 s19, s20
	s_wait_alu 0xfffe
	s_xor_b32 s19, exec_lo, s19
	s_cbranch_execz .LBB4_460
; %bb.459:                              ;   in Loop: Header=BB4_420 Depth=3
	ds_store_b32 v0, v113
	s_trap 2
.LBB4_460:                              ;   in Loop: Header=BB4_420 Depth=3
	s_wait_alu 0xfffe
	s_or_b32 exec_lo, exec_lo, s18
	;;#ASMSTART
	s_wakeup
	;;#ASMEND
.LBB4_461:                              ;   in Loop: Header=BB4_420 Depth=3
	s_wait_alu 0xfffe
	s_or_b32 exec_lo, exec_lo, s17
.LBB4_462:                              ;   in Loop: Header=BB4_420 Depth=3
	s_wait_alu 0xfffe
	s_and_not1_saveexec_b32 s16, s16
	s_cbranch_execz .LBB4_464
; %bb.463:                              ;   in Loop: Header=BB4_420 Depth=3
	s_wait_storecnt 0x0
	s_wait_loadcnt_dscnt 0x0
	global_inv scope:SCOPE_DEV
	s_barrier_signal -1
	s_barrier_wait -1
.LBB4_464:                              ;   in Loop: Header=BB4_420 Depth=3
	s_wait_alu 0xfffe
	s_or_b32 exec_lo, exec_lo, s16
.LBB4_465:                              ;   in Loop: Header=BB4_420 Depth=3
	s_wait_alu 0xfffe
	s_or_b32 exec_lo, exec_lo, s13
                                        ; implicit-def: $vgpr3
	s_and_saveexec_b32 s13, s94
	s_wait_alu 0xfffe
	s_xor_b32 s13, exec_lo, s13
	s_cbranch_execz .LBB4_477
; %bb.466:                              ;   in Loop: Header=BB4_420 Depth=3
	s_and_saveexec_b32 s16, s3
	s_wait_alu 0xfffe
	s_xor_b32 s16, exec_lo, s16
	s_cbranch_execz .LBB4_482
; %bb.467:                              ;   in Loop: Header=BB4_420 Depth=3
	s_and_saveexec_b32 s17, s6
	s_cbranch_execz .LBB4_481
; %bb.468:                              ;   in Loop: Header=BB4_420 Depth=3
	s_mov_b32 s19, exec_lo
	s_mov_b32 s18, exec_lo
	s_wait_alu 0xfffe
	v_mbcnt_lo_u32_b32 v3, s19, 0
	;;#ASMSTART
	s_waitcnt lgkmcnt(0) vmcnt(0)
	;;#ASMEND
	s_delay_alu instid0(VALU_DEP_1)
	v_cmpx_eq_u32_e32 0, v3
	s_cbranch_execz .LBB4_470
; %bb.469:                              ;   in Loop: Header=BB4_420 Depth=3
	s_bcnt1_i32_b32 s19, s19
	s_wait_alu 0xfffe
	v_dual_mov_b32 v9, v2 :: v_dual_mov_b32 v8, s19
	s_wait_storecnt 0x0
	s_wait_loadcnt_dscnt 0x0
	ds_add_u64 v0, v[8:9]
	s_trap 2
.LBB4_470:                              ;   in Loop: Header=BB4_420 Depth=3
	s_or_b32 exec_lo, exec_lo, s18
	s_trap 2
	ds_load_b64 v[8:9], v0
	s_wait_dscnt 0x0
	global_inv scope:SCOPE_SE
	v_add_co_u32 v38, vcc_lo, v38, v103
	s_wait_alu 0xfffd
	v_add_co_ci_u32_e64 v39, null, 0, v39, vcc_lo
	s_mov_b32 s18, exec_lo
	v_cmpx_lt_u64_e64 v[8:9], v[38:39]
	s_cbranch_execz .LBB4_480
; %bb.471:                              ;   in Loop: Header=BB4_420 Depth=3
	s_mov_b32 s19, 0
	s_mov_b32 s22, 0
                                        ; implicit-def: $sgpr20
                                        ; implicit-def: $sgpr21
	s_branch .LBB4_473
.LBB4_472:                              ;   in Loop: Header=BB4_473 Depth=4
	s_wait_alu 0xfffe
	s_or_b32 exec_lo, exec_lo, s24
	s_delay_alu instid0(SALU_CYCLE_1)
	s_and_b32 s23, exec_lo, s25
	s_wait_alu 0xfffe
	s_or_b32 s19, s23, s19
	s_and_not1_b32 s20, s20, exec_lo
	s_and_b32 s23, s21, exec_lo
	s_wait_alu 0xfffe
	s_or_b32 s20, s20, s23
	s_and_not1_b32 exec_lo, exec_lo, s19
	s_cbranch_execz .LBB4_478
.LBB4_473:                              ;   Parent Loop BB4_47 Depth=1
                                        ;     Parent Loop BB4_271 Depth=2
                                        ;       Parent Loop BB4_420 Depth=3
                                        ; =>      This Inner Loop Header: Depth=4
	s_wait_alu 0xfffe
	s_add_co_i32 s22, s22, 1
	s_wait_alu 0xfffe
	s_cmp_lg_u32 s22, 0x2710
	s_cselect_b32 s23, -1, 0
	s_wait_alu 0xfffe
	s_and_b32 vcc_lo, exec_lo, s23
	s_wait_alu 0xfffe
	s_cbranch_vccz .LBB4_475
; %bb.474:                              ;   in Loop: Header=BB4_473 Depth=4
	s_mov_b32 s25, -1
	s_or_b32 s21, s21, exec_lo
	s_and_saveexec_b32 s24, s23
	s_cbranch_execz .LBB4_472
	s_branch .LBB4_476
.LBB4_475:                              ;   in Loop: Header=BB4_473 Depth=4
	s_trap 2
	ds_load_b64 v[8:9], v0
	s_and_not1_b32 s23, s23, exec_lo
	s_mov_b32 s22, 0
	s_wait_storecnt 0x0
	s_wait_loadcnt_dscnt 0x0
	flat_load_b32 v3, v[8:9] scope:SCOPE_SYS
	s_wait_loadcnt_dscnt 0x0
	global_inv scope:SCOPE_SYS
	v_cmp_eq_u32_e32 vcc_lo, 0, v3
	s_and_b32 s24, vcc_lo, exec_lo
	s_wait_alu 0xfffe
	s_or_b32 s23, s23, s24
	s_mov_b32 s25, -1
	s_or_b32 s21, s21, exec_lo
	s_wait_alu 0xfffe
	s_and_saveexec_b32 s24, s23
	s_cbranch_execz .LBB4_472
.LBB4_476:                              ;   in Loop: Header=BB4_473 Depth=4
	s_sleep 1
	s_trap 2
	ds_load_b64 v[8:9], v0
	s_wait_dscnt 0x0
	global_inv scope:SCOPE_SE
	s_wait_alu 0xfffe
	s_and_not1_b32 s21, s21, exec_lo
	v_cmp_ge_u64_e32 vcc_lo, v[8:9], v[38:39]
	s_or_not1_b32 s25, vcc_lo, exec_lo
	s_branch .LBB4_472
.LBB4_477:                              ;   in Loop: Header=BB4_420 Depth=3
	s_wait_alu 0xfffe
	s_and_not1_saveexec_b32 s16, s13
	s_cbranch_execnz .LBB4_485
	s_branch .LBB4_488
.LBB4_478:                              ;   in Loop: Header=BB4_420 Depth=3
	s_or_b32 exec_lo, exec_lo, s19
	s_wait_alu 0xfffe
	s_and_saveexec_b32 s19, s20
	s_wait_alu 0xfffe
	s_xor_b32 s19, exec_lo, s19
	s_cbranch_execz .LBB4_480
; %bb.479:                              ;   in Loop: Header=BB4_420 Depth=3
	ds_store_b32 v0, v113
	s_trap 2
.LBB4_480:                              ;   in Loop: Header=BB4_420 Depth=3
	s_wait_alu 0xfffe
	s_or_b32 exec_lo, exec_lo, s18
	;;#ASMSTART
	s_wakeup
	;;#ASMEND
.LBB4_481:                              ;   in Loop: Header=BB4_420 Depth=3
	s_wait_alu 0xfffe
	s_or_b32 exec_lo, exec_lo, s17
.LBB4_482:                              ;   in Loop: Header=BB4_420 Depth=3
	s_wait_alu 0xfffe
	s_and_not1_saveexec_b32 s16, s16
	s_cbranch_execz .LBB4_484
; %bb.483:                              ;   in Loop: Header=BB4_420 Depth=3
	;;#ASMSTART
	s_waitcnt lgkmcnt(0) vmcnt(0)
	;;#ASMEND
	s_barrier_signal -1
	s_barrier_wait -1
.LBB4_484:                              ;   in Loop: Header=BB4_420 Depth=3
	s_wait_alu 0xfffe
	s_or_b32 exec_lo, exec_lo, s16
	v_and_b32_e32 v3, 16, v30
	s_and_not1_saveexec_b32 s16, s13
	s_cbranch_execz .LBB4_488
.LBB4_485:                              ;   in Loop: Header=BB4_420 Depth=3
	s_trap 2
	ds_load_b32 v3, v0
	v_cmp_lt_i32_e32 vcc_lo, 0, v68
	s_wait_dscnt 0x0
	v_readfirstlane_b32 s13, v3
	v_and_b32_e32 v3, 16, v30
	s_cmp_eq_u32 s13, 0
	s_delay_alu instid0(VALU_DEP_1)
	v_cmp_ne_u32_e64 s13, 0, v3
	s_cselect_b32 s17, -1, 0
	v_and_b32_e32 v3, 16, v30
	s_wait_alu 0xfffe
	s_and_b32 s17, vcc_lo, s17
	s_wait_alu 0xfffe
	s_and_b32 s17, s13, s17
	s_wait_alu 0xfffe
	s_and_saveexec_b32 s13, s17
	s_cbranch_execz .LBB4_487
; %bb.486:                              ;   in Loop: Header=BB4_420 Depth=3
	v_mov_b32_e32 v3, 1
	global_wb scope:SCOPE_SYS
	s_wait_loadcnt 0x0
	s_wait_storecnt 0x0
	global_inv scope:SCOPE_SYS
.LBB4_487:                              ;   in Loop: Header=BB4_420 Depth=3
	s_wait_alu 0xfffe
	s_or_b32 exec_lo, exec_lo, s13
.LBB4_488:                              ;   in Loop: Header=BB4_420 Depth=3
	s_wait_alu 0xfffe
	s_or_b32 exec_lo, exec_lo, s16
	v_cmp_ne_u32_e32 vcc_lo, 0, v3
	s_xor_b32 s13, s4, -1
	s_wait_alu 0xfffe
	s_and_b32 s16, vcc_lo, s13
	s_wait_alu 0xfffe
	s_and_saveexec_b32 s13, s16
	s_cbranch_execz .LBB4_490
; %bb.489:                              ;   in Loop: Header=BB4_420 Depth=3
	global_wb scope:SCOPE_SYS
	s_wait_storecnt 0x0
	s_wait_loadcnt_dscnt 0x0
	flat_store_b32 v[36:37], v113 scope:SCOPE_SYS
.LBB4_490:                              ;   in Loop: Header=BB4_420 Depth=3
	s_wait_alu 0xfffe
	s_or_b32 exec_lo, exec_lo, s13
	v_and_b32_e32 v3, 48, v30
	s_mov_b32 s13, exec_lo
	s_delay_alu instid0(VALU_DEP_1)
	v_cmpx_ne_u32_e32 0, v3
	s_cbranch_execz .LBB4_419
; %bb.491:                              ;   in Loop: Header=BB4_420 Depth=3
	v_add_co_u32 v64, vcc_lo, v64, 2
	s_wait_alu 0xfffd
	v_add_co_ci_u32_e64 v65, null, 0, v65, vcc_lo
	global_wb scope:SCOPE_SYS
	s_wait_storecnt 0x0
	s_wait_loadcnt_dscnt 0x0
	flat_store_b64 v[32:33], v[64:65] scope:SCOPE_SYS
	s_branch .LBB4_419
.LBB4_492:                              ;   in Loop: Header=BB4_47 Depth=1
	v_mul_lo_u32 v3, v55, s72
	v_mul_lo_u32 v10, v54, s73
	v_mad_co_u64_u32 v[8:9], null, v54, s72, 0
	v_mov_b32_e32 v71, 0
	s_delay_alu instid0(VALU_DEP_2) | instskip(NEXT) | instid1(VALU_DEP_3)
	v_add3_u32 v9, v9, v10, v3
	v_sub_co_u32 v10, vcc_lo, v66, v8
	s_wait_alu 0xfffd
	s_delay_alu instid0(VALU_DEP_2) | instskip(NEXT) | instid1(VALU_DEP_1)
	v_sub_co_ci_u32_e64 v11, null, v67, v9, vcc_lo
	v_cmp_lt_i64_e32 vcc_lo, v[54:55], v[10:11]
	s_wait_alu 0xfffd
	v_cndmask_b32_e32 v11, v10, v54, vcc_lo
	s_delay_alu instid0(VALU_DEP_1) | instskip(NEXT) | instid1(VALU_DEP_1)
	v_max_i32_e32 v3, 0, v11
	v_add_nc_u32_e32 v10, 31, v3
	v_cmp_lt_i32_e32 vcc_lo, 0, v11
	s_delay_alu instid0(VALU_DEP_2) | instskip(SKIP_1) | instid1(VALU_DEP_1)
	v_lshrrev_b32_e32 v10, 1, v10
	s_and_b32 s13, vcc_hi, vcc_lo
	v_and_b32_e32 v12, 0x3ffffff0, v10
	v_mov_b32_e32 v10, 0
	s_delay_alu instid0(VALU_DEP_2)
	v_max_i32_e32 v68, s92, v12
	s_wait_alu 0xfffe
	s_and_saveexec_b32 s77, s13
	s_cbranch_execz .LBB4_673
; %bb.493:                              ;   in Loop: Header=BB4_47 Depth=1
	v_add_co_u32 v151, vcc_lo, v8, v149
	s_wait_alu 0xfffd
	v_add_co_ci_u32_e64 v160, null, v9, v150, vcc_lo
	v_mov_b32_e32 v71, 0
	s_mov_b32 s38, 1
	s_mov_b32 s37, -1
	s_mov_b32 s36, 0
	s_branch .LBB4_495
.LBB4_494:                              ;   in Loop: Header=BB4_495 Depth=2
	s_wait_alu 0xfffe
	s_or_b32 exec_lo, exec_lo, s13
	v_dual_mov_b32 v10, s38 :: v_dual_add_nc_u32 v71, v68, v71
	s_xor_b32 s13, s37, -1
	s_mov_b32 s37, 0
	s_mov_b32 s38, 2
	s_delay_alu instid0(VALU_DEP_1)
	v_cmp_ge_i32_e32 vcc_lo, v71, v3
	s_wait_alu 0xfffe
	s_or_b32 s13, s13, vcc_lo
	s_wait_alu 0xfffe
	s_and_b32 s13, exec_lo, s13
	s_wait_alu 0xfffe
	s_or_b32 s36, s13, s36
	s_wait_alu 0xfffe
	s_and_not1_b32 exec_lo, exec_lo, s36
	s_cbranch_execz .LBB4_672
.LBB4_495:                              ;   Parent Loop BB4_47 Depth=1
                                        ; =>  This Loop Header: Depth=2
                                        ;       Child Loop BB4_503 Depth 3
                                        ;       Child Loop BB4_531 Depth 3
	;; [unrolled: 1-line block ×5, first 2 shown]
                                        ;         Child Loop BB4_583 Depth 4
                                        ;       Child Loop BB4_592 Depth 3
                                        ;       Child Loop BB4_597 Depth 3
                                        ;         Child Loop BB4_598 Depth 4
                                        ;       Child Loop BB4_610 Depth 3
                                        ;       Child Loop BB4_615 Depth 3
	;; [unrolled: 1-line block ×6, first 2 shown]
	s_and_saveexec_b32 s14, s0
	s_cbranch_execz .LBB4_497
; %bb.496:                              ;   in Loop: Header=BB4_495 Depth=2
	s_trap 2
	ds_load_2addr_b64 v[8:11], v0 offset1:1
	ds_load_b64 v[12:13], v0
	v_ashrrev_i32_e32 v14, 31, v71
	s_wait_dscnt 0x1
	v_add_co_u32 v8, vcc_lo, v8, v151
	s_wait_alu 0xfffd
	v_add_co_ci_u32_e64 v9, null, v9, v160, vcc_lo
	v_add_co_u32 v10, vcc_lo, v10, v151
	s_wait_alu 0xfffd
	v_add_co_ci_u32_e64 v11, null, v11, v160, vcc_lo
	s_wait_dscnt 0x0
	v_add_co_u32 v15, vcc_lo, v12, v151
	s_wait_alu 0xfffd
	v_add_co_ci_u32_e64 v16, null, v13, v160, vcc_lo
	v_add_co_u32 v8, vcc_lo, v8, v71
	s_wait_alu 0xfffd
	v_add_co_ci_u32_e64 v9, null, v9, v14, vcc_lo
	;; [unrolled: 3-line block ×3, first 2 shown]
	v_cmp_ne_u64_e32 vcc_lo, 0, v[12:13]
	v_add_co_u32 v10, s13, v10, v71
	s_wait_alu 0xf1ff
	v_add_co_ci_u32_e64 v11, null, v11, v14, s13
	s_wait_alu 0xfffd
	v_dual_cndmask_b32 v13, 0, v16 :: v_dual_cndmask_b32 v12, 0, v15
	ds_store_b64 v0, v[8:9]
	ds_store_b64 v0, v[10:11]
	;; [unrolled: 1-line block ×3, first 2 shown]
.LBB4_497:                              ;   in Loop: Header=BB4_495 Depth=2
	s_wait_alu 0xfffe
	s_or_b32 exec_lo, exec_lo, s14
	v_sub_nc_u32_e32 v8, v3, v71
	v_and_b32_e32 v9, 12, v30
	s_mov_b32 s14, exec_lo
	s_delay_alu instid0(VALU_DEP_2) | instskip(NEXT) | instid1(VALU_DEP_2)
	v_min_i32_e32 v68, v68, v8
	v_cmpx_ne_u32_e32 0, v9
	s_cbranch_execz .LBB4_523
; %bb.498:                              ;   in Loop: Header=BB4_495 Depth=2
	v_and_b32_e32 v16, 8, v30
	s_mov_b32 s15, exec_lo
	s_delay_alu instid0(VALU_DEP_1)
	v_add_co_u32 v10, vcc_lo, v48, v16
	s_wait_alu 0xfffd
	v_add_co_ci_u32_e64 v11, null, 0, v49, vcc_lo
	v_add_co_u32 v8, vcc_lo, v64, 2
	s_wait_alu 0xfffd
	v_add_co_ci_u32_e64 v9, null, 0, v65, vcc_lo
	s_delay_alu instid0(VALU_DEP_1)
	v_cmpx_lt_u64_e64 v[10:11], v[8:9]
	s_cbranch_execz .LBB4_510
; %bb.499:                              ;   in Loop: Header=BB4_495 Depth=2
	v_and_b32_e32 v10, 64, v30
	s_mov_b32 s16, 0
	s_mov_b32 s20, 0
                                        ; implicit-def: $sgpr17
                                        ; implicit-def: $sgpr18
                                        ; implicit-def: $sgpr19
	s_delay_alu instid0(VALU_DEP_1)
	v_cmp_eq_u32_e32 vcc_lo, 0, v10
	s_branch .LBB4_503
.LBB4_500:                              ;   in Loop: Header=BB4_503 Depth=3
	v_add_co_u32 v11, s13, v48, v16
	s_wait_alu 0xf1ff
	v_add_co_ci_u32_e64 v12, null, 0, v49, s13
	s_or_b32 s23, s23, exec_lo
	v_cmp_ge_u64_e64 s13, v[11:12], v[8:9]
	s_or_not1_b32 s22, s13, exec_lo
.LBB4_501:                              ;   in Loop: Header=BB4_503 Depth=3
	s_wait_alu 0xfffe
	s_or_b32 exec_lo, exec_lo, s25
	s_delay_alu instid0(SALU_CYCLE_1)
	s_and_not1_b32 s13, s19, exec_lo
	s_and_b32 s19, s23, exec_lo
	s_and_not1_b32 s18, s18, exec_lo
	s_and_b32 s22, s22, exec_lo
	s_wait_alu 0xfffe
	s_or_b32 s19, s13, s19
	s_or_b32 s18, s18, s22
.LBB4_502:                              ;   in Loop: Header=BB4_503 Depth=3
	s_wait_alu 0xfffe
	s_or_b32 exec_lo, exec_lo, s21
	s_delay_alu instid0(SALU_CYCLE_1)
	s_and_b32 s13, exec_lo, s18
	s_wait_alu 0xfffe
	s_or_b32 s16, s13, s16
	s_and_not1_b32 s13, s17, exec_lo
	s_and_b32 s17, s19, exec_lo
	s_wait_alu 0xfffe
	s_or_b32 s17, s13, s17
	s_and_not1_b32 exec_lo, exec_lo, s16
	s_cbranch_execz .LBB4_507
.LBB4_503:                              ;   Parent Loop BB4_47 Depth=1
                                        ;     Parent Loop BB4_495 Depth=2
                                        ; =>    This Inner Loop Header: Depth=3
	s_sleep 1
	flat_load_b64 v[48:49], v[32:33] scope:SCOPE_SYS
	s_wait_loadcnt_dscnt 0x0
	global_inv scope:SCOPE_SYS
	s_or_b32 s19, s19, exec_lo
	s_or_b32 s18, s18, exec_lo
                                        ; implicit-def: $vgpr10
	s_and_saveexec_b32 s21, vcc_lo
	s_cbranch_execz .LBB4_502
; %bb.504:                              ;   in Loop: Header=BB4_503 Depth=3
	s_wait_alu 0xfffe
	s_cmp_lt_i32 s20, 0x270f
	s_mov_b32 s22, -1
	s_cselect_b32 s24, -1, 0
	s_cmp_gt_i32 s20, 0x270e
	s_cbranch_scc0 .LBB4_506
; %bb.505:                              ;   in Loop: Header=BB4_503 Depth=3
	s_trap 2
	ds_load_b64 v[10:11], v0
	s_wait_alu 0xfffe
	s_and_not1_b32 s20, s24, exec_lo
	s_mov_b32 s23, 0
	s_wait_storecnt 0x0
	s_wait_loadcnt_dscnt 0x0
	flat_load_b32 v10, v[10:11] scope:SCOPE_SYS
	s_wait_loadcnt_dscnt 0x0
	global_inv scope:SCOPE_SYS
	v_cmp_eq_u32_e64 s13, 0, v10
	s_and_b32 s13, s13, exec_lo
	s_wait_alu 0xfffe
	s_or_b32 s24, s20, s13
	s_mov_b32 s20, 0
	s_wait_alu 0xfffe
	s_and_saveexec_b32 s25, s24
	s_cbranch_execz .LBB4_501
	s_branch .LBB4_500
.LBB4_506:                              ;   in Loop: Header=BB4_503 Depth=3
	s_add_co_i32 s20, s20, 1
	s_mov_b32 s23, -1
                                        ; implicit-def: $vgpr10
	s_wait_alu 0xfffe
	s_and_saveexec_b32 s25, s24
	s_cbranch_execz .LBB4_501
	s_branch .LBB4_500
.LBB4_507:                              ;   in Loop: Header=BB4_495 Depth=2
	s_or_b32 exec_lo, exec_lo, s16
	s_wait_alu 0xfffe
	s_xor_b32 s13, s17, -1
	s_wait_alu 0xfffe
	s_and_saveexec_b32 s16, s13
	s_wait_alu 0xfffe
	s_xor_b32 s13, exec_lo, s16
	s_cbranch_execz .LBB4_509
; %bb.508:                              ;   in Loop: Header=BB4_495 Depth=2
	v_or_b32_e32 v30, 64, v30
	s_wait_loadcnt 0x0
	s_wait_storecnt 0x0
	ds_store_b32 v0, v10
	s_trap 2
.LBB4_509:                              ;   in Loop: Header=BB4_495 Depth=2
	s_wait_alu 0xfffe
	s_or_b32 exec_lo, exec_lo, s13
.LBB4_510:                              ;   in Loop: Header=BB4_495 Depth=2
	s_wait_alu 0xfffe
	s_or_b32 exec_lo, exec_lo, s15
	v_and_b32_e32 v10, 0x108, v30
	;;#ASMSTART
	s_wakeup
	;;#ASMEND
	s_delay_alu instid0(VALU_DEP_1)
	v_cmp_ne_u32_e32 vcc_lo, 0x108, v10
                                        ; implicit-def: $vgpr10_vgpr11
	s_and_saveexec_b32 s13, vcc_lo
	s_wait_alu 0xfffe
	s_xor_b32 s13, exec_lo, s13
; %bb.511:                              ;   in Loop: Header=BB4_495 Depth=2
	v_dual_mov_b32 v11, v2 :: v_dual_and_b32 v10, 7, v64
                                        ; implicit-def: $vgpr64_vgpr65
; %bb.512:                              ;   in Loop: Header=BB4_495 Depth=2
	s_wait_alu 0xfffe
	s_and_not1_saveexec_b32 s13, s13
	s_cbranch_execz .LBB4_514
; %bb.513:                              ;   in Loop: Header=BB4_495 Depth=2
	v_dual_mov_b32 v11, v2 :: v_dual_and_b32 v10, 7, v64
	v_ashrrev_i32_e32 v69, 31, v68
	s_delay_alu instid0(VALU_DEP_2)
	v_mad_co_u64_u32 v[12:13], null, v10, 24, v[6:7]
	flat_store_b64 v[12:13], v[68:69] offset:8
.LBB4_514:                              ;   in Loop: Header=BB4_495 Depth=2
	s_wait_alu 0xfffe
	s_or_b32 exec_lo, exec_lo, s13
	v_and_b32_e32 v12, 0x100, v30
	s_mov_b32 s13, -1
	s_delay_alu instid0(VALU_DEP_1)
	v_cmp_ne_u32_e32 vcc_lo, 0, v12
                                        ; implicit-def: $vgpr12_vgpr13
	s_and_saveexec_b32 s15, vcc_lo
	s_cbranch_execz .LBB4_518
; %bb.515:                              ;   in Loop: Header=BB4_495 Depth=2
	v_mad_co_u64_u32 v[14:15], null, v10, 24, v[6:7]
	s_delay_alu instid0(VALU_DEP_1) | instskip(NEXT) | instid1(VALU_DEP_1)
	v_mov_b32_e32 v12, v15
	v_mad_co_u64_u32 v[12:13], null, v11, 24, v[12:13]
	s_delay_alu instid0(VALU_DEP_1)
	v_mov_b32_e32 v15, v12
	flat_load_b32 v12, v[14:15]
	s_wait_loadcnt_dscnt 0x0
	v_cmp_eq_u32_e64 s13, 1, v12
	v_cmp_ne_u32_e32 vcc_lo, 1, v12
                                        ; implicit-def: $vgpr12_vgpr13
	s_wait_alu 0xfffe
	s_and_saveexec_b32 s16, s13
	s_cbranch_execz .LBB4_517
; %bb.516:                              ;   in Loop: Header=BB4_495 Depth=2
	flat_load_b32 v12, v[14:15] offset:4 scope:SCOPE_SYS
	s_wait_loadcnt_dscnt 0x0
	v_ashrrev_i32_e32 v13, 31, v12
.LBB4_517:                              ;   in Loop: Header=BB4_495 Depth=2
	s_wait_alu 0xfffe
	s_or_b32 exec_lo, exec_lo, s16
	s_delay_alu instid0(SALU_CYCLE_1)
	s_or_not1_b32 s13, vcc_lo, exec_lo
.LBB4_518:                              ;   in Loop: Header=BB4_495 Depth=2
	s_wait_alu 0xfffe
	s_or_b32 exec_lo, exec_lo, s15
	s_and_saveexec_b32 s15, s13
; %bb.519:                              ;   in Loop: Header=BB4_495 Depth=2
	v_mul_lo_u32 v11, v11, v100
	v_mul_lo_u32 v14, v10, v102
	v_mad_co_u64_u32 v[12:13], null, v10, v100, 0
	s_delay_alu instid0(VALU_DEP_1)
	v_add3_u32 v13, v13, v14, v11
; %bb.520:                              ;   in Loop: Header=BB4_495 Depth=2
	s_wait_alu 0xfffe
	s_or_b32 exec_lo, exec_lo, s15
	v_cmp_eq_u32_e32 vcc_lo, 0, v16
	v_and_b32_e32 v15, 0x2000, v30
	s_mov_b32 s13, exec_lo
	s_wait_alu 0xfffd
	v_cndmask_b32_e32 v14, 0xd0, v114, vcc_lo
	v_add_co_u32 v10, vcc_lo, v34, v12
	s_wait_alu 0xfffd
	v_add_co_ci_u32_e64 v11, null, v35, v13, vcc_lo
	s_delay_alu instid0(VALU_DEP_3)
	v_add_nc_u32_e32 v12, v0, v14
	ds_store_b64 v12, v[10:11] offset:584
	v_cmpx_ne_u32_e32 0, v15
	s_cbranch_execz .LBB4_522
; %bb.521:                              ;   in Loop: Header=BB4_495 Depth=2
	ds_load_b64 v[10:11], v0 offset:872
	s_wait_dscnt 0x0
	v_add_co_u32 v10, vcc_lo, v10, 1
	s_wait_alu 0xfffd
	v_add_co_ci_u32_e64 v11, null, 0, v11, vcc_lo
	ds_store_b64 v0, v[10:11] offset:872
.LBB4_522:                              ;   in Loop: Header=BB4_495 Depth=2
	s_wait_alu 0xfffe
	s_or_b32 exec_lo, exec_lo, s13
	v_dual_mov_b32 v65, v9 :: v_dual_mov_b32 v64, v8
.LBB4_523:                              ;   in Loop: Header=BB4_495 Depth=2
	s_wait_alu 0xfffe
	s_or_b32 exec_lo, exec_lo, s14
	s_and_saveexec_b32 s13, s2
	s_cbranch_execz .LBB4_542
; %bb.524:                              ;   in Loop: Header=BB4_495 Depth=2
	s_and_saveexec_b32 s14, s3
	s_wait_alu 0xfffe
	s_xor_b32 s14, exec_lo, s14
	s_cbranch_execz .LBB4_539
; %bb.525:                              ;   in Loop: Header=BB4_495 Depth=2
	s_and_saveexec_b32 s15, s6
	s_cbranch_execz .LBB4_538
; %bb.526:                              ;   in Loop: Header=BB4_495 Depth=2
	s_mov_b32 s17, exec_lo
	s_mov_b32 s16, exec_lo
	s_wait_alu 0xfffe
	v_mbcnt_lo_u32_b32 v8, s17, 0
	s_wait_storecnt 0x0
	s_wait_loadcnt_dscnt 0x0
	global_inv scope:SCOPE_DEV
	v_cmpx_eq_u32_e32 0, v8
	s_cbranch_execz .LBB4_528
; %bb.527:                              ;   in Loop: Header=BB4_495 Depth=2
	s_bcnt1_i32_b32 s17, s17
	s_wait_alu 0xfffe
	v_dual_mov_b32 v9, v2 :: v_dual_mov_b32 v8, s17
	s_wait_loadcnt 0x0
	ds_add_u64 v0, v[8:9]
	s_trap 2
.LBB4_528:                              ;   in Loop: Header=BB4_495 Depth=2
	s_or_b32 exec_lo, exec_lo, s16
	s_trap 2
	ds_load_b64 v[8:9], v0
	s_wait_dscnt 0x0
	global_inv scope:SCOPE_SE
	v_add_co_u32 v38, vcc_lo, v38, v103
	s_wait_alu 0xfffd
	v_add_co_ci_u32_e64 v39, null, 0, v39, vcc_lo
	s_mov_b32 s16, exec_lo
	v_cmpx_lt_u64_e64 v[8:9], v[38:39]
	s_cbranch_execz .LBB4_537
; %bb.529:                              ;   in Loop: Header=BB4_495 Depth=2
	s_mov_b32 s17, 0
	s_mov_b32 s20, 0
                                        ; implicit-def: $sgpr18
                                        ; implicit-def: $sgpr19
	s_branch .LBB4_531
.LBB4_530:                              ;   in Loop: Header=BB4_531 Depth=3
	s_wait_alu 0xfffe
	s_or_b32 exec_lo, exec_lo, s22
	s_delay_alu instid0(SALU_CYCLE_1)
	s_and_b32 s21, exec_lo, s23
	s_wait_alu 0xfffe
	s_or_b32 s17, s21, s17
	s_and_not1_b32 s18, s18, exec_lo
	s_and_b32 s21, s19, exec_lo
	s_wait_alu 0xfffe
	s_or_b32 s18, s18, s21
	s_and_not1_b32 exec_lo, exec_lo, s17
	s_cbranch_execz .LBB4_535
.LBB4_531:                              ;   Parent Loop BB4_47 Depth=1
                                        ;     Parent Loop BB4_495 Depth=2
                                        ; =>    This Inner Loop Header: Depth=3
	s_wait_alu 0xfffe
	s_add_co_i32 s20, s20, 1
	s_wait_alu 0xfffe
	s_cmp_lg_u32 s20, 0x2710
	s_cselect_b32 s21, -1, 0
	s_wait_alu 0xfffe
	s_and_b32 vcc_lo, exec_lo, s21
	s_wait_alu 0xfffe
	s_cbranch_vccz .LBB4_533
; %bb.532:                              ;   in Loop: Header=BB4_531 Depth=3
	s_mov_b32 s23, -1
	s_or_b32 s19, s19, exec_lo
	s_and_saveexec_b32 s22, s21
	s_cbranch_execz .LBB4_530
	s_branch .LBB4_534
.LBB4_533:                              ;   in Loop: Header=BB4_531 Depth=3
	s_trap 2
	ds_load_b64 v[8:9], v0
	s_and_not1_b32 s21, s21, exec_lo
	s_mov_b32 s20, 0
	s_wait_loadcnt_dscnt 0x0
	flat_load_b32 v8, v[8:9] scope:SCOPE_SYS
	s_wait_loadcnt_dscnt 0x0
	global_inv scope:SCOPE_SYS
	v_cmp_eq_u32_e32 vcc_lo, 0, v8
	s_and_b32 s22, vcc_lo, exec_lo
	s_wait_alu 0xfffe
	s_or_b32 s21, s21, s22
	s_mov_b32 s23, -1
	s_or_b32 s19, s19, exec_lo
	s_wait_alu 0xfffe
	s_and_saveexec_b32 s22, s21
	s_cbranch_execz .LBB4_530
.LBB4_534:                              ;   in Loop: Header=BB4_531 Depth=3
	s_sleep 1
	s_trap 2
	ds_load_b64 v[8:9], v0
	s_wait_dscnt 0x0
	global_inv scope:SCOPE_SE
	s_wait_alu 0xfffe
	s_and_not1_b32 s19, s19, exec_lo
	v_cmp_ge_u64_e32 vcc_lo, v[8:9], v[38:39]
	s_or_not1_b32 s23, vcc_lo, exec_lo
	s_branch .LBB4_530
.LBB4_535:                              ;   in Loop: Header=BB4_495 Depth=2
	s_or_b32 exec_lo, exec_lo, s17
	s_wait_alu 0xfffe
	s_and_saveexec_b32 s17, s18
	s_wait_alu 0xfffe
	s_xor_b32 s17, exec_lo, s17
	s_cbranch_execz .LBB4_537
; %bb.536:                              ;   in Loop: Header=BB4_495 Depth=2
	ds_store_b32 v0, v113
	s_trap 2
.LBB4_537:                              ;   in Loop: Header=BB4_495 Depth=2
	s_wait_alu 0xfffe
	s_or_b32 exec_lo, exec_lo, s16
	;;#ASMSTART
	s_wakeup
	;;#ASMEND
.LBB4_538:                              ;   in Loop: Header=BB4_495 Depth=2
	s_wait_alu 0xfffe
	s_or_b32 exec_lo, exec_lo, s15
.LBB4_539:                              ;   in Loop: Header=BB4_495 Depth=2
	s_wait_alu 0xfffe
	s_and_not1_saveexec_b32 s14, s14
	s_cbranch_execz .LBB4_541
; %bb.540:                              ;   in Loop: Header=BB4_495 Depth=2
	s_wait_storecnt 0x0
	s_wait_loadcnt_dscnt 0x0
	global_inv scope:SCOPE_DEV
	s_barrier_signal -1
	s_barrier_wait -1
.LBB4_541:                              ;   in Loop: Header=BB4_495 Depth=2
	s_wait_alu 0xfffe
	s_or_b32 exec_lo, exec_lo, s14
.LBB4_542:                              ;   in Loop: Header=BB4_495 Depth=2
	s_wait_alu 0xfffe
	s_or_b32 exec_lo, exec_lo, s13
	s_trap 2
	ds_load_b32 v8, v0
	v_and_b32_e32 v9, 0x4000, v30
	s_xor_b32 s13, s1, -1
	s_delay_alu instid0(VALU_DEP_1)
	v_cmp_ne_u32_e32 vcc_lo, 0, v9
	s_wait_alu 0xfffe
	s_and_b32 s14, s13, vcc_lo
	s_wait_alu 0xfffe
	s_and_saveexec_b32 s13, s14
	s_cbranch_execz .LBB4_561
; %bb.543:                              ;   in Loop: Header=BB4_495 Depth=2
	s_and_saveexec_b32 s14, s3
	s_wait_alu 0xfffe
	s_xor_b32 s14, exec_lo, s14
	s_cbranch_execz .LBB4_558
; %bb.544:                              ;   in Loop: Header=BB4_495 Depth=2
	s_and_saveexec_b32 s15, s6
	s_cbranch_execz .LBB4_557
; %bb.545:                              ;   in Loop: Header=BB4_495 Depth=2
	s_mov_b32 s17, exec_lo
	s_mov_b32 s16, exec_lo
	s_wait_alu 0xfffe
	v_mbcnt_lo_u32_b32 v9, s17, 0
	s_wait_storecnt 0x0
	s_wait_loadcnt_dscnt 0x0
	global_inv scope:SCOPE_DEV
	v_cmpx_eq_u32_e32 0, v9
	s_cbranch_execz .LBB4_547
; %bb.546:                              ;   in Loop: Header=BB4_495 Depth=2
	s_bcnt1_i32_b32 s17, s17
	s_wait_alu 0xfffe
	v_dual_mov_b32 v10, v2 :: v_dual_mov_b32 v9, s17
	s_wait_loadcnt 0x0
	ds_add_u64 v0, v[9:10]
	s_trap 2
.LBB4_547:                              ;   in Loop: Header=BB4_495 Depth=2
	s_or_b32 exec_lo, exec_lo, s16
	s_trap 2
	ds_load_b64 v[9:10], v0
	s_wait_dscnt 0x0
	global_inv scope:SCOPE_SE
	v_add_co_u32 v38, vcc_lo, v38, v103
	s_wait_alu 0xfffd
	v_add_co_ci_u32_e64 v39, null, 0, v39, vcc_lo
	s_mov_b32 s16, exec_lo
	v_cmpx_lt_u64_e64 v[9:10], v[38:39]
	s_cbranch_execz .LBB4_556
; %bb.548:                              ;   in Loop: Header=BB4_495 Depth=2
	s_mov_b32 s17, 0
	s_mov_b32 s20, 0
                                        ; implicit-def: $sgpr18
                                        ; implicit-def: $sgpr19
	s_branch .LBB4_550
.LBB4_549:                              ;   in Loop: Header=BB4_550 Depth=3
	s_wait_alu 0xfffe
	s_or_b32 exec_lo, exec_lo, s22
	s_delay_alu instid0(SALU_CYCLE_1)
	s_and_b32 s21, exec_lo, s23
	s_wait_alu 0xfffe
	s_or_b32 s17, s21, s17
	s_and_not1_b32 s18, s18, exec_lo
	s_and_b32 s21, s19, exec_lo
	s_wait_alu 0xfffe
	s_or_b32 s18, s18, s21
	s_and_not1_b32 exec_lo, exec_lo, s17
	s_cbranch_execz .LBB4_554
.LBB4_550:                              ;   Parent Loop BB4_47 Depth=1
                                        ;     Parent Loop BB4_495 Depth=2
                                        ; =>    This Inner Loop Header: Depth=3
	s_wait_alu 0xfffe
	s_add_co_i32 s20, s20, 1
	s_wait_alu 0xfffe
	s_cmp_lg_u32 s20, 0x2710
	s_cselect_b32 s21, -1, 0
	s_wait_alu 0xfffe
	s_and_b32 vcc_lo, exec_lo, s21
	s_wait_alu 0xfffe
	s_cbranch_vccz .LBB4_552
; %bb.551:                              ;   in Loop: Header=BB4_550 Depth=3
	s_mov_b32 s23, -1
	s_or_b32 s19, s19, exec_lo
	s_and_saveexec_b32 s22, s21
	s_cbranch_execz .LBB4_549
	s_branch .LBB4_553
.LBB4_552:                              ;   in Loop: Header=BB4_550 Depth=3
	s_trap 2
	ds_load_b64 v[9:10], v0
	s_and_not1_b32 s21, s21, exec_lo
	s_mov_b32 s20, 0
	s_wait_loadcnt_dscnt 0x0
	flat_load_b32 v9, v[9:10] scope:SCOPE_SYS
	s_wait_loadcnt_dscnt 0x0
	global_inv scope:SCOPE_SYS
	v_cmp_eq_u32_e32 vcc_lo, 0, v9
	s_and_b32 s22, vcc_lo, exec_lo
	s_wait_alu 0xfffe
	s_or_b32 s21, s21, s22
	s_mov_b32 s23, -1
	s_or_b32 s19, s19, exec_lo
	s_wait_alu 0xfffe
	s_and_saveexec_b32 s22, s21
	s_cbranch_execz .LBB4_549
.LBB4_553:                              ;   in Loop: Header=BB4_550 Depth=3
	s_sleep 1
	s_trap 2
	ds_load_b64 v[9:10], v0
	s_wait_dscnt 0x0
	global_inv scope:SCOPE_SE
	s_wait_alu 0xfffe
	s_and_not1_b32 s19, s19, exec_lo
	v_cmp_ge_u64_e32 vcc_lo, v[9:10], v[38:39]
	s_or_not1_b32 s23, vcc_lo, exec_lo
	s_branch .LBB4_549
.LBB4_554:                              ;   in Loop: Header=BB4_495 Depth=2
	s_or_b32 exec_lo, exec_lo, s17
	s_wait_alu 0xfffe
	s_and_saveexec_b32 s17, s18
	s_wait_alu 0xfffe
	s_xor_b32 s17, exec_lo, s17
	s_cbranch_execz .LBB4_556
; %bb.555:                              ;   in Loop: Header=BB4_495 Depth=2
	ds_store_b32 v0, v113
	s_trap 2
.LBB4_556:                              ;   in Loop: Header=BB4_495 Depth=2
	s_wait_alu 0xfffe
	s_or_b32 exec_lo, exec_lo, s16
	;;#ASMSTART
	s_wakeup
	;;#ASMEND
.LBB4_557:                              ;   in Loop: Header=BB4_495 Depth=2
	s_wait_alu 0xfffe
	s_or_b32 exec_lo, exec_lo, s15
.LBB4_558:                              ;   in Loop: Header=BB4_495 Depth=2
	s_wait_alu 0xfffe
	s_and_not1_saveexec_b32 s14, s14
	s_cbranch_execz .LBB4_560
; %bb.559:                              ;   in Loop: Header=BB4_495 Depth=2
	s_wait_storecnt 0x0
	s_wait_loadcnt_dscnt 0x0
	global_inv scope:SCOPE_DEV
	s_barrier_signal -1
	s_barrier_wait -1
.LBB4_560:                              ;   in Loop: Header=BB4_495 Depth=2
	s_wait_alu 0xfffe
	s_or_b32 exec_lo, exec_lo, s14
.LBB4_561:                              ;   in Loop: Header=BB4_495 Depth=2
	s_wait_alu 0xfffe
	s_or_b32 exec_lo, exec_lo, s13
	s_trap 2
	ds_load_b64 v[69:70], v0
	s_wait_dscnt 0x0
	v_cmp_eq_u64_e32 vcc_lo, 0, v[69:70]
	s_cbranch_vccnz .LBB4_570
; %bb.562:                              ;   in Loop: Header=BB4_495 Depth=2
	s_trap 2
	ds_load_b64 v[80:81], v0
	s_wait_dscnt 0x0
	v_cmp_eq_u64_e32 vcc_lo, 0, v[80:81]
	s_cbranch_vccnz .LBB4_570
; %bb.563:                              ;   in Loop: Header=BB4_495 Depth=2
	s_trap 2
	ds_load_b64 v[82:83], v0
	v_cmp_eq_u32_e64 s13, 0, v8
	s_wait_alu 0xf1ff
	s_delay_alu instid0(VALU_DEP_1)
	v_cndmask_b32_e64 v161, 0, v68, s13
	s_mov_b32 s13, -1
	s_wait_dscnt 0x0
	v_cmp_ne_u64_e32 vcc_lo, 0, v[82:83]
	s_cbranch_vccz .LBB4_601
; %bb.564:                              ;   in Loop: Header=BB4_495 Depth=2
	s_and_saveexec_b32 s14, s12
	s_cbranch_execz .LBB4_566
; %bb.565:                              ;   in Loop: Header=BB4_495 Depth=2
	ds_load_b32 v8, v0 offset:720
	s_wait_dscnt 0x0
	v_and_b32_e32 v8, 15, v8
	s_delay_alu instid0(VALU_DEP_1)
	v_cmp_eq_u32_e32 vcc_lo, 0, v8
	s_or_not1_b32 s13, vcc_lo, exec_lo
.LBB4_566:                              ;   in Loop: Header=BB4_495 Depth=2
	s_wait_alu 0xfffe
	s_or_b32 exec_lo, exec_lo, s14
	s_and_saveexec_b32 s14, s12
	s_cbranch_execz .LBB4_568
; %bb.567:                              ;   in Loop: Header=BB4_495 Depth=2
	ds_load_b32 v8, v0 offset:784
	s_wait_dscnt 0x0
	v_and_b32_e32 v8, 15, v8
	s_delay_alu instid0(VALU_DEP_1)
	v_cmp_eq_u32_e32 vcc_lo, 0, v8
	s_and_b32 s15, s13, vcc_lo
	s_and_not1_b32 s13, s13, exec_lo
	s_wait_alu 0xfffe
	s_and_b32 s15, s15, exec_lo
	s_wait_alu 0xfffe
	s_or_b32 s13, s13, s15
.LBB4_568:                              ;   in Loop: Header=BB4_495 Depth=2
	s_wait_alu 0xfffe
	s_or_b32 exec_lo, exec_lo, s14
	s_xor_b32 s13, s13, -1
	v_dual_mov_b32 v17, 0 :: v_dual_mov_b32 v18, v161
	s_wait_alu 0xfffe
	v_cndmask_b32_e64 v8, 0, 1, s13
	v_mov_b32_e32 v20, v0
	s_mov_b32 s13, -1
	s_delay_alu instid0(VALU_DEP_2)
	v_cmp_ne_u32_e32 vcc_lo, 0, v8
	v_mov_b32_e32 v8, v130
	s_cbranch_vccz .LBB4_575
; %bb.569:                              ;   in Loop: Header=BB4_495 Depth=2
	s_wait_alu 0xfffe
	s_and_saveexec_b32 s29, s13
	s_cbranch_execnz .LBB4_590
	s_branch .LBB4_600
.LBB4_570:                              ;   in Loop: Header=BB4_495 Depth=2
	s_mov_b32 s13, 0
	s_and_saveexec_b32 s14, s2
	s_cbranch_execnz .LBB4_631
.LBB4_571:                              ;   in Loop: Header=BB4_495 Depth=2
	s_wait_alu 0xfffe
	s_or_b32 exec_lo, exec_lo, s14
                                        ; implicit-def: $vgpr8
	s_and_saveexec_b32 s14, s10
	s_wait_alu 0xfffe
	s_xor_b32 s14, exec_lo, s14
	s_cbranch_execz .LBB4_649
.LBB4_572:                              ;   in Loop: Header=BB4_495 Depth=2
	v_and_b32_e32 v8, 16, v30
	s_delay_alu instid0(VALU_DEP_1)
	v_cmp_ne_u32_e32 vcc_lo, 0, v8
	v_and_b32_e32 v8, 16, v30
	s_and_b32 s15, vcc_lo, s13
	s_wait_alu 0xfffe
	s_and_saveexec_b32 s13, s15
	s_cbranch_execz .LBB4_574
; %bb.573:                              ;   in Loop: Header=BB4_495 Depth=2
	v_mov_b32_e32 v8, 1
	global_wb scope:SCOPE_SYS
	s_wait_storecnt 0x0
	s_wait_loadcnt_dscnt 0x0
	global_inv scope:SCOPE_SYS
.LBB4_574:                              ;   in Loop: Header=BB4_495 Depth=2
	s_wait_alu 0xfffe
	s_or_b32 exec_lo, exec_lo, s13
	s_and_not1_saveexec_b32 s13, s14
	s_cbranch_execz .LBB4_668
	s_branch .LBB4_650
.LBB4_575:                              ;   in Loop: Header=BB4_495 Depth=2
	v_ashrrev_i32_e32 v8, 31, v161
	s_mov_b32 s39, exec_lo
	s_delay_alu instid0(VALU_DEP_1) | instskip(NEXT) | instid1(VALU_DEP_1)
	v_lshrrev_b32_e32 v8, 22, v8
	v_add_nc_u32_e32 v8, v161, v8
	s_delay_alu instid0(VALU_DEP_1) | instskip(NEXT) | instid1(VALU_DEP_1)
	v_ashrrev_i32_e32 v163, 10, v8
	v_sub_nc_u32_e32 v162, v163, v130
	s_delay_alu instid0(VALU_DEP_1)
	v_cmpx_lt_i32_e32 0, v162
	s_cbranch_execz .LBB4_579
; %bb.576:                              ;   in Loop: Header=BB4_495 Depth=2
	s_trap 2
	ds_load_b64 v[8:9], v0
	v_add_co_u32 v84, vcc_lo, v80, v146
	s_wait_alu 0xfffd
	v_add_co_ci_u32_e64 v85, null, v81, v148, vcc_lo
	v_add_co_u32 v86, vcc_lo, v82, v146
	s_wait_alu 0xfffd
	v_add_co_ci_u32_e64 v87, null, v83, v148, vcc_lo
	;; [unrolled: 3-line block ×3, first 2 shown]
	s_mov_b32 s48, 0
	s_wait_dscnt 0x0
	v_add_co_u32 v98, vcc_lo, v8, v146
	s_wait_alu 0xfffd
	v_add_co_ci_u32_e64 v99, null, v9, v148, vcc_lo
.LBB4_577:                              ;   Parent Loop BB4_47 Depth=1
                                        ;     Parent Loop BB4_495 Depth=2
                                        ; =>    This Inner Loop Header: Depth=3
	global_load_b128 v[16:19], v[96:97], off th:TH_LOAD_NT
	global_load_b128 v[20:23], v[98:99], off th:TH_LOAD_NT
	global_load_b128 v[8:11], v[96:97], off offset:512 th:TH_LOAD_NT
	global_load_b128 v[12:15], v[98:99], off offset:512 th:TH_LOAD_NT
	v_dual_mov_b32 v164, 0 :: v_dual_mov_b32 v165, 0
	v_dual_mov_b32 v166, 0 :: v_dual_mov_b32 v177, 0
	;; [unrolled: 1-line block ×16, first 2 shown]
	v_sub_nc_u32_e32 v162, v162, v103
	v_add_co_u32 v96, vcc_lo, v96, v118
	s_wait_alu 0xfffd
	v_add_co_ci_u32_e64 v97, null, 0, v97, vcc_lo
	v_add_co_u32 v98, vcc_lo, v98, v118
	s_wait_alu 0xfffd
	v_add_co_ci_u32_e64 v99, null, 0, v99, vcc_lo
	v_cmp_gt_i32_e32 vcc_lo, 1, v162
	s_wait_alu 0xfffe
	s_or_b32 s48, vcc_lo, s48
	s_wait_loadcnt 0x3
	v_bfe_u32 v78, v16, 8, 8
	s_wait_loadcnt 0x2
	v_bfe_u32 v79, v20, 8, 8
	v_lshrrev_b32_e32 v88, 24, v16
	v_lshrrev_b32_e32 v89, 24, v20
	;; [unrolled: 1-line block ×4, first 2 shown]
	v_cvt_f32_bf8_e32 v78, v78
	v_cvt_f32_bf8_e32 v79, v79
	v_and_b32_e32 v76, 0xff, v16
	v_bfe_u32 v16, v16, 16, 8
	v_cvt_f32_bf8_e32 v88, v88
	v_cvt_f32_bf8_e32 v89, v89
	v_and_b32_e32 v77, 0xff, v20
	v_bfe_u32 v20, v20, 16, 8
	v_bfe_u32 v92, v17, 8, 8
	;; [unrolled: 1-line block ×3, first 2 shown]
	v_cvt_f32_bf8_e32 v16, v16
	v_cvt_f32_bf8_e32 v94, v94
	;; [unrolled: 1-line block ×3, first 2 shown]
	v_and_b32_e32 v91, 0xff, v21
	v_bfe_u32 v21, v21, 16, 8
	v_cvt_f32_bf8_e32 v95, v95
	v_and_b32_e32 v90, 0xff, v17
	v_bfe_u32 v17, v17, 16, 8
	v_bfe_u32 v106, v18, 8, 8
	;; [unrolled: 1-line block ×3, first 2 shown]
	v_cvt_f32_bf8_e32 v21, v21
	v_cvt_f32_bf8_e32 v76, v76
	;; [unrolled: 1-line block ×5, first 2 shown]
	v_and_b32_e32 v104, 0xff, v18
	v_mul_f32_e32 v16, v16, v20
	v_mul_f32_e32 v20, v88, v89
	v_cvt_f32_bf8_e32 v77, v77
	v_and_b32_e32 v105, 0xff, v22
	v_lshrrev_b32_e32 v108, 24, v18
	v_lshrrev_b32_e32 v109, 24, v22
	v_bfe_u32 v18, v18, 16, 8
	v_bfe_u32 v22, v22, 16, 8
	v_dual_mul_f32 v17, v17, v21 :: v_dual_and_b32 v110, 0xff, v19
	v_bfe_u32 v120, v19, 8, 8
	v_bfe_u32 v121, v23, 8, 8
	s_wait_loadcnt 0x1
	v_bfe_u32 v140, v9, 8, 8
	s_wait_loadcnt 0x0
	v_bfe_u32 v141, v13, 8, 8
	v_cvt_f32_bf8_e32 v91, v91
	v_cvt_f32_bf8_e32 v106, v106
	;; [unrolled: 1-line block ×3, first 2 shown]
	v_dual_mul_f32 v21, v94, v95 :: v_dual_and_b32 v124, 0xff, v8
	v_cvt_f32_bf8_e32 v90, v90
	v_and_b32_e32 v125, 0xff, v12
	v_lshrrev_b32_e32 v122, 24, v19
	v_lshrrev_b32_e32 v123, 24, v23
	v_bfe_u32 v19, v19, 16, 8
	v_bfe_u32 v126, v8, 8, 8
	;; [unrolled: 1-line block ×3, first 2 shown]
	v_lshrrev_b32_e32 v136, 24, v8
	v_lshrrev_b32_e32 v137, 24, v12
	v_bfe_u32 v8, v8, 16, 8
	v_bfe_u32 v12, v12, 16, 8
	v_mul_f32_e32 v76, v76, v77
	v_cvt_f32_bf8_e32 v105, v105
	v_mul_f32_e32 v77, v78, v79
	v_mul_f32_e32 v79, v92, v93
	v_cvt_f32_bf8_e32 v104, v104
	v_and_b32_e32 v111, 0xff, v23
	v_bfe_u32 v23, v23, 16, 8
	v_bfe_u32 v154, v10, 8, 8
	;; [unrolled: 1-line block ×3, first 2 shown]
	v_lshrrev_b32_e32 v156, 24, v10
	v_lshrrev_b32_e32 v157, 24, v14
	v_bfe_u32 v168, v11, 8, 8
	v_bfe_u32 v169, v15, 8, 8
	v_lshrrev_b32_e32 v170, 24, v11
	v_lshrrev_b32_e32 v171, 24, v15
	v_cvt_f32_bf8_e32 v18, v18
	v_cvt_f32_bf8_e32 v22, v22
	;; [unrolled: 1-line block ×4, first 2 shown]
	v_and_b32_e32 v153, 0xff, v14
	v_bfe_u32 v14, v14, 16, 8
	v_cvt_f32_bf8_e32 v120, v120
	v_cvt_f32_bf8_e32 v121, v121
	v_and_b32_e32 v152, 0xff, v10
	v_bfe_u32 v10, v10, 16, 8
	v_cvt_f32_bf8_e32 v140, v140
	v_cvt_f32_bf8_e32 v141, v141
	v_and_b32_e32 v158, 0xff, v11
	v_bfe_u32 v11, v11, 16, 8
	v_mul_f32_e32 v78, v90, v91
	v_cvt_f32_bf8_e32 v125, v125
	v_mul_f32_e32 v89, v106, v107
	v_cvt_f32_bf8_e32 v124, v124
	v_and_b32_e32 v159, 0xff, v15
	v_bfe_u32 v15, v15, 16, 8
	v_dual_mul_f32 v18, v18, v22 :: v_dual_and_b32 v139, 0xff, v13
	v_lshrrev_b32_e32 v142, 24, v9
	v_lshrrev_b32_e32 v143, 24, v13
	v_bfe_u32 v13, v13, 16, 8
	v_cvt_f32_bf8_e32 v19, v19
	v_cvt_f32_bf8_e32 v23, v23
	v_and_b32_e32 v138, 0xff, v9
	v_bfe_u32 v9, v9, 16, 8
	v_cvt_f32_bf8_e32 v122, v122
	v_cvt_f32_bf8_e32 v123, v123
	;; [unrolled: 1-line block ×8, first 2 shown]
	v_mul_f32_e32 v22, v108, v109
	v_med3_num_f32 v109, v77, s89, 0xc7600000
	v_cmp_nlg_f32_e64 s13, 0x7f800000, |v77|
	v_cvt_f32_bf8_e32 v110, v110
	v_cvt_f32_bf8_e32 v9, v9
	;; [unrolled: 1-line block ×5, first 2 shown]
	v_mul_f32_e32 v88, v104, v105
	v_cvt_f32_bf8_e32 v111, v111
	v_mul_f32_e32 v19, v19, v23
	v_dual_mul_f32 v23, v122, v123 :: v_dual_mul_f32 v8, v8, v12
	v_cvt_f32_bf8_e32 v126, v126
	v_cvt_f32_bf8_e32 v127, v127
	;; [unrolled: 1-line block ×10, first 2 shown]
	v_dual_mul_f32 v91, v120, v121 :: v_dual_mul_f32 v10, v10, v14
	v_mul_f32_e32 v11, v11, v15
	v_med3_num_f32 v121, v79, s89, 0xc7600000
	v_cmp_nlg_f32_e64 s17, 0x7f800000, |v79|
	s_wait_alu 0xf1ff
	v_cndmask_b32_e64 v77, v109, v77, s13
	v_cvt_f32_bf8_e32 v136, v136
	v_cvt_f32_bf8_e32 v137, v137
	;; [unrolled: 1-line block ×6, first 2 shown]
	v_dual_mul_f32 v90, v110, v111 :: v_dual_mul_f32 v9, v9, v13
	s_delay_alu instid0(VALU_DEP_4)
	v_dual_mul_f32 v13, v142, v143 :: v_dual_mul_f32 v104, v152, v153
	v_med3_num_f32 v142, v8, s89, 0xc7600000
	v_cmp_nlg_f32_e64 s40, 0x7f800000, |v8|
	v_mul_f32_e32 v92, v124, v125
	v_cvt_f32_bf8_e32 v159, v159
	v_dual_mul_f32 v93, v126, v127 :: v_dual_mul_f32 v12, v136, v137
	v_dual_mul_f32 v94, v138, v139 :: v_dual_mul_f32 v107, v168, v169
	v_mul_f32_e32 v95, v140, v141
	v_cvt_f32_bf8_e32 v158, v158
	v_dual_mul_f32 v105, v154, v155 :: v_dual_mul_f32 v14, v156, v157
	v_cmp_nlg_f32_e64 s60, 0x7f800000, |v11|
	v_cndmask_b32_e64 v79, v121, v79, s17
	v_cvt_pk_bf8_f32 v165, v77, v77
	v_mul_f32_e32 v15, v170, v171
	v_med3_num_f32 v170, v11, s89, 0xc7600000
	v_med3_num_f32 v110, v16, s89, 0xc7600000
	v_cmp_nlg_f32_e64 s14, 0x7f800000, |v16|
	v_med3_num_f32 v122, v17, s89, 0xc7600000
	v_cmp_nlg_f32_e64 s18, 0x7f800000, |v17|
	;; [unrolled: 2-line block ×6, first 2 shown]
	s_wait_alu 0xf1ff
	v_cndmask_b32_e64 v8, v142, v8, s40
	v_med3_num_f32 v111, v20, s89, 0xc7600000
	v_cmp_nlg_f32_e64 s15, 0x7f800000, |v20|
	v_med3_num_f32 v123, v21, s89, 0xc7600000
	v_cmp_nlg_f32_e64 s19, 0x7f800000, |v21|
	;; [unrolled: 2-line block ×6, first 2 shown]
	v_cmp_nlg_f32_e64 s56, 0x7f800000, |v10|
	v_med3_num_f32 v169, v107, s89, 0xc7600000
	v_cmp_nlg_f32_e64 s59, 0x7f800000, |v107|
	v_cndmask_b32_e64 v11, v170, v11, s60
	v_cvt_pk_bf8_f32 v177, v79, v79
	v_mul_f32_e32 v106, v158, v159
	v_med3_num_f32 v158, v10, s89, 0xc7600000
	v_med3_num_f32 v108, v76, s89, 0xc7600000
	;; [unrolled: 1-line block ×3, first 2 shown]
	v_cmp_nlg_f32_e64 s16, 0x7f800000, |v78|
	v_med3_num_f32 v124, v88, s89, 0xc7600000
	v_cmp_nlg_f32_e64 s20, 0x7f800000, |v88|
	v_med3_num_f32 v127, v22, s89, 0xc7600000
	;; [unrolled: 2-line block ×6, first 2 shown]
	v_cmp_nlg_f32_e64 s57, 0x7f800000, |v14|
	v_cmp_nlg_f32_e64 s62, 0x7f800000, |v76|
	v_cndmask_b32_e64 v16, v110, v16, s14
	v_cndmask_b32_e64 v17, v122, v17, s18
	;; [unrolled: 1-line block ×6, first 2 shown]
	v_cvt_pk_bf8_f32 v46, v8, v8
	v_lshlrev_b32_e32 v8, 8, v165
	v_med3_num_f32 v171, v15, s89, 0xc7600000
	v_cmp_nlg_f32_e64 s61, 0x7f800000, |v15|
	v_med3_num_f32 v140, v92, s89, 0xc7600000
	v_cmp_nlg_f32_e64 s28, 0x7f800000, |v92|
	;; [unrolled: 2-line block ×5, first 2 shown]
	s_wait_alu 0xf1ff
	v_cndmask_b32_e64 v20, v111, v20, s15
	v_cndmask_b32_e64 v21, v123, v21, s19
	;; [unrolled: 1-line block ×8, first 2 shown]
	v_cvt_pk_bf8_f32 v74, v11, v11
	v_lshlrev_b32_e32 v11, 8, v177
	v_med3_num_f32 v168, v106, s89, 0xc7600000
	v_cmp_nlg_f32_e64 s58, 0x7f800000, |v106|
	v_cndmask_b32_e64 v76, v108, v76, s62
	v_cndmask_b32_e64 v78, v120, v78, s16
	;; [unrolled: 1-line block ×9, first 2 shown]
	v_cvt_pk_bf8_f32 v167, v16, v16
	v_cvt_pk_bf8_f32 v179, v17, v17
	;; [unrolled: 1-line block ×6, first 2 shown]
	v_cndmask_b32_e64 v92, v140, v92, s28
	v_cndmask_b32_e64 v94, v152, v94, s42
	;; [unrolled: 1-line block ×4, first 2 shown]
	s_wait_alu 0xf1ff
	v_cndmask_b32_e64 v106, v168, v106, s58
	v_cvt_pk_bf8_f32 v176, v20, v20
	v_cvt_pk_bf8_f32 v180, v21, v21
	;; [unrolled: 1-line block ×17, first 2 shown]
	v_and_b32_e32 v9, 0xff, v167
	v_and_b32_e32 v12, 0xff, v179
	v_lshlrev_b32_e32 v14, 8, v181
	v_and_b32_e32 v15, 0xff, v183
	v_lshlrev_b32_e32 v17, 8, v41
	v_and_b32_e32 v18, 0xff, v42
	v_cvt_pk_bf8_f32 v43, v92, v92
	v_cvt_pk_bf8_f32 v47, v94, v94
	;; [unrolled: 1-line block ×5, first 2 shown]
	v_lshlrev_b32_e32 v10, 24, v176
	v_lshlrev_b32_e32 v13, 24, v180
	;; [unrolled: 1-line block ×3, first 2 shown]
	v_and_b32_e32 v21, 0xff, v46
	v_lshlrev_b32_e32 v23, 8, v57
	v_and_b32_e32 v165, 0xff, v58
	v_lshlrev_b32_e32 v176, 8, v61
	;; [unrolled: 2-line block ×4, first 2 shown]
	v_lshlrev_b32_e32 v19, 24, v44
	v_lshlrev_b32_e32 v9, 16, v9
	v_perm_b32 v8, v8, v164, 0xc0c0500
	v_lshlrev_b32_e32 v12, 16, v12
	v_perm_b32 v11, v11, v166, 0xc0c0500
	;; [unrolled: 2-line block ×4, first 2 shown]
	v_lshlrev_b32_e32 v22, 24, v56
	v_lshlrev_b32_e32 v167, 24, v60
	;; [unrolled: 1-line block ×5, first 2 shown]
	v_perm_b32 v20, v20, v43, 0xc0c0500
	v_lshlrev_b32_e32 v164, 16, v165
	v_perm_b32 v23, v23, v47, 0xc0c0500
	v_lshlrev_b32_e32 v165, 16, v177
	;; [unrolled: 2-line block ×3, first 2 shown]
	v_perm_b32 v177, v180, v63, 0xc0c0500
	v_or3_b32 v8, v10, v9, v8
	v_or3_b32 v9, v13, v12, v11
	;; [unrolled: 1-line block ×8, first 2 shown]
	s_clause 0x1
	global_store_b128 v[84:85], v[8:11], off th:TH_STORE_NT
	global_store_b128 v[84:85], v[12:15], off offset:512 th:TH_STORE_NT
	s_clause 0x1
	global_store_b128 v[86:87], v[8:11], off th:TH_STORE_NT
	global_store_b128 v[86:87], v[12:15], off offset:512 th:TH_STORE_NT
	v_add_co_u32 v84, s13, v84, v118
	s_wait_alu 0xf1ff
	v_add_co_ci_u32_e64 v85, null, 0, v85, s13
	v_add_co_u32 v86, s13, v86, v118
	s_wait_alu 0xf1ff
	v_add_co_ci_u32_e64 v87, null, 0, v87, s13
	s_wait_alu 0xfffe
	s_and_not1_b32 exec_lo, exec_lo, s48
	s_cbranch_execnz .LBB4_577
; %bb.578:                              ;   in Loop: Header=BB4_495 Depth=2
	s_or_b32 exec_lo, exec_lo, s48
.LBB4_579:                              ;   in Loop: Header=BB4_495 Depth=2
	s_wait_alu 0xfffe
	s_or_b32 exec_lo, exec_lo, s39
	v_dual_mov_b32 v17, 0 :: v_dual_lshlrev_b32 v16, 10, v163
	s_mov_b32 s13, 0
	s_mov_b32 s18, exec_lo
                                        ; implicit-def: $vgpr18
                                        ; implicit-def: $vgpr20
                                        ; implicit-def: $vgpr8
	s_delay_alu instid0(VALU_DEP_1)
	v_cmpx_ne_u32_e64 v161, v16
	s_cbranch_execz .LBB4_589
; %bb.580:                              ;   in Loop: Header=BB4_495 Depth=2
	v_lshlrev_b32_e32 v8, 5, v162
	v_sub_nc_u32_e32 v10, v161, v16
	s_mov_b32 s19, exec_lo
	s_delay_alu instid0(VALU_DEP_2) | instskip(NEXT) | instid1(VALU_DEP_2)
	v_sub_nc_u32_e32 v8, v132, v8
	v_ashrrev_i32_e32 v11, 31, v10
	s_delay_alu instid0(VALU_DEP_2) | instskip(NEXT) | instid1(VALU_DEP_2)
	v_ashrrev_i32_e32 v9, 31, v8
	v_lshrrev_b32_e32 v11, 23, v11
	s_delay_alu instid0(VALU_DEP_2) | instskip(NEXT) | instid1(VALU_DEP_2)
	v_lshrrev_b32_e32 v9, 27, v9
	v_add_nc_u32_e32 v11, v10, v11
	s_delay_alu instid0(VALU_DEP_2) | instskip(NEXT) | instid1(VALU_DEP_2)
	v_add_nc_u32_e32 v9, v8, v9
	v_and_b32_e32 v19, 0xfffffe00, v11
	v_ashrrev_i32_e32 v11, 9, v11
	s_delay_alu instid0(VALU_DEP_3) | instskip(NEXT) | instid1(VALU_DEP_3)
	v_and_b32_e32 v12, 0xffffffe0, v9
	v_sub_nc_u32_e32 v22, v10, v19
	v_ashrrev_i32_e32 v9, 5, v9
	s_delay_alu instid0(VALU_DEP_3) | instskip(NEXT) | instid1(VALU_DEP_3)
	v_sub_nc_u32_e32 v21, v8, v12
	v_cmp_lt_i32_e64 s13, 15, v22
	s_delay_alu instid0(VALU_DEP_2) | instskip(SKIP_1) | instid1(VALU_DEP_2)
	v_lshlrev_b32_e32 v8, 4, v21
	s_wait_alu 0xf1fe
	v_add_co_ci_u32_e64 v11, null, 0, v11, s13
	s_delay_alu instid0(VALU_DEP_2) | instskip(NEXT) | instid1(VALU_DEP_2)
	v_lshl_add_u32 v8, v9, 9, v8
	v_sub_nc_u32_e32 v23, v11, v9
	s_delay_alu instid0(VALU_DEP_2) | instskip(NEXT) | instid1(VALU_DEP_1)
	v_sub_nc_u32_e32 v17, v10, v8
	v_cmpx_lt_i32_e32 15, v17
	s_cbranch_execz .LBB4_586
; %bb.581:                              ;   in Loop: Header=BB4_495 Depth=2
	s_trap 2
	ds_load_b64 v[9:10], v0
	v_add_nc_u32_e32 v8, v8, v16
	s_mov_b32 s20, 0
	s_delay_alu instid0(VALU_DEP_1) | instskip(SKIP_2) | instid1(VALU_DEP_2)
	v_ashrrev_i32_e32 v11, 31, v8
	v_add_co_u32 v18, vcc_lo, v8, v80
	s_wait_alu 0xfffd
	v_add_co_ci_u32_e64 v20, null, v11, v81, vcc_lo
	v_add_co_u32 v84, vcc_lo, v8, v82
	s_wait_alu 0xfffd
	v_add_co_ci_u32_e64 v85, null, v11, v83, vcc_lo
	;; [unrolled: 3-line block ×3, first 2 shown]
	s_wait_dscnt 0x0
	v_add_co_u32 v14, vcc_lo, v9, v8
	s_wait_alu 0xfffd
	v_add_co_ci_u32_e64 v15, null, v10, v11, vcc_lo
.LBB4_582:                              ;   Parent Loop BB4_47 Depth=1
                                        ;     Parent Loop BB4_495 Depth=2
                                        ; =>    This Loop Header: Depth=3
                                        ;         Child Loop BB4_583 Depth 4
	global_load_b128 v[8:11], v[14:15], off th:TH_LOAD_NT
	global_load_b128 v[96:99], v[12:13], off th:TH_LOAD_NT
	v_dual_mov_b32 v86, 0 :: v_dual_mov_b32 v87, 0
	v_dual_mov_b32 v162, 0 :: v_dual_mov_b32 v163, 0
	;; [unrolled: 1-line block ×8, first 2 shown]
	s_mov_b64 s[16:17], 0
	s_mov_b32 s21, -1
	s_wait_loadcnt 0x1
	v_lshrrev_b32_e32 v42, 24, v8
	s_wait_loadcnt 0x0
	v_lshrrev_b32_e32 v62, 24, v96
	v_bfe_u32 v41, v8, 8, 8
	v_bfe_u32 v61, v96, 8, 8
	;; [unrolled: 1-line block ×3, first 2 shown]
	v_lshrrev_b32_e32 v73, 24, v97
	v_cvt_f32_bf8_e32 v42, v42
	v_cvt_f32_bf8_e32 v62, v62
	v_and_b32_e32 v63, 0xff, v97
	v_bfe_u32 v97, v97, 16, 8
	v_cvt_f32_bf8_e32 v41, v41
	v_cvt_f32_bf8_e32 v61, v61
	v_and_b32_e32 v40, 0xff, v8
	v_bfe_u32 v8, v8, 16, 8
	v_cvt_f32_bf8_e32 v97, v97
	v_and_b32_e32 v60, 0xff, v96
	v_bfe_u32 v96, v96, 16, 8
	v_bfe_u32 v44, v9, 8, 8
	v_lshrrev_b32_e32 v45, 24, v9
	v_cvt_f32_bf8_e32 v8, v8
	v_cvt_f32_bf8_e32 v60, v60
	;; [unrolled: 1-line block ×3, first 2 shown]
	v_mul_f32_e32 v41, v41, v61
	v_cvt_f32_bf8_e32 v40, v40
	v_and_b32_e32 v43, 0xff, v9
	v_bfe_u32 v9, v9, 16, 8
	v_bfe_u32 v47, v10, 8, 8
	v_lshrrev_b32_e32 v56, 24, v10
	v_dual_mul_f32 v8, v8, v96 :: v_dual_and_b32 v57, 0xff, v11
	v_bfe_u32 v58, v11, 8, 8
	v_bfe_u32 v75, v98, 8, 8
	v_lshrrev_b32_e32 v76, 24, v98
	v_bfe_u32 v78, v99, 8, 8
	v_cvt_f32_bf8_e32 v44, v44
	v_cvt_f32_bf8_e32 v9, v9
	;; [unrolled: 1-line block ×4, first 2 shown]
	v_and_b32_e32 v46, 0xff, v10
	v_bfe_u32 v10, v10, 16, 8
	v_cvt_f32_bf8_e32 v73, v73
	v_and_b32_e32 v74, 0xff, v98
	v_bfe_u32 v98, v98, 16, 8
	v_mul_f32_e32 v40, v40, v60
	v_cvt_f32_bf8_e32 v43, v43
	v_mul_f32_e32 v96, v42, v62
	v_cvt_f32_bf8_e32 v63, v63
	v_lshrrev_b32_e32 v59, 24, v11
	v_bfe_u32 v11, v11, 16, 8
	v_lshrrev_b32_e32 v79, 24, v99
	v_cvt_f32_bf8_e32 v47, v47
	v_cvt_f32_bf8_e32 v10, v10
	;; [unrolled: 1-line block ×8, first 2 shown]
	v_dual_mul_f32 v42, v43, v63 :: v_dual_mul_f32 v43, v44, v72
	v_cvt_f32_bf8_e32 v46, v46
	v_mul_f32_e32 v9, v9, v97
	v_mul_f32_e32 v97, v45, v73
	v_cvt_f32_bf8_e32 v74, v74
	v_and_b32_e32 v77, 0xff, v99
	v_bfe_u32 v99, v99, 16, 8
	v_cvt_f32_bf8_e32 v57, v57
	v_cvt_f32_bf8_e32 v11, v11
	v_mul_f32_e32 v44, v46, v74
	v_cvt_f32_bf8_e32 v77, v77
	v_cvt_f32_bf8_e32 v99, v99
	v_dual_mul_f32 v45, v47, v75 :: v_dual_mul_f32 v10, v10, v98
	v_mul_f32_e32 v98, v56, v76
	v_med3_num_f32 v56, v40, s89, 0xc7600000
	v_cmp_nlg_f32_e64 vcc_lo, 0x7f800000, |v40|
	v_cvt_f32_bf8_e32 v59, v59
	v_cvt_f32_bf8_e32 v79, v79
	v_mul_f32_e32 v46, v57, v77
	v_med3_num_f32 v57, v41, s89, 0xc7600000
	s_wait_alu 0xfffd
	v_cndmask_b32_e32 v40, v56, v40, vcc_lo
	v_cmp_nlg_f32_e64 vcc_lo, 0x7f800000, |v41|
	v_mul_f32_e32 v47, v58, v78
	v_med3_num_f32 v58, v8, s89, 0xc7600000
	v_mul_f32_e32 v11, v11, v99
	v_mul_f32_e32 v99, v59, v79
	s_wait_alu 0xfffd
	v_cndmask_b32_e32 v41, v57, v41, vcc_lo
	v_cmp_nlg_f32_e64 vcc_lo, 0x7f800000, |v8|
	v_med3_num_f32 v59, v96, s89, 0xc7600000
	v_med3_num_f32 v61, v43, s89, 0xc7600000
	v_med3_num_f32 v60, v42, s89, 0xc7600000
	v_med3_num_f32 v62, v9, s89, 0xc7600000
	s_wait_alu 0xfffd
	v_cndmask_b32_e32 v8, v58, v8, vcc_lo
	v_cmp_nlg_f32_e64 vcc_lo, 0x7f800000, |v96|
	v_med3_num_f32 v63, v97, s89, 0xc7600000
	v_med3_num_f32 v72, v44, s89, 0xc7600000
	v_med3_num_f32 v73, v45, s89, 0xc7600000
	v_med3_num_f32 v74, v10, s89, 0xc7600000
	;; [unrolled: 7-line block ×3, first 2 shown]
	s_wait_alu 0xfffd
	v_cndmask_b32_e32 v42, v60, v42, vcc_lo
	v_cmp_nlg_f32_e64 vcc_lo, 0x7f800000, |v43|
	v_med3_num_f32 v79, v99, s89, 0xc7600000
	v_cvt_pk_bf8_f32 v87, v41, v41
	v_cvt_pk_bf8_f32 v86, v40, v40
	s_wait_alu 0xfffd
	v_cndmask_b32_e32 v43, v61, v43, vcc_lo
	v_cmp_nlg_f32_e64 vcc_lo, 0x7f800000, |v9|
	v_cvt_pk_bf8_f32 v162, v8, v8
	v_lshlrev_b32_e32 v8, 8, v87
	s_delay_alu instid0(VALU_DEP_4)
	v_cvt_pk_bf8_f32 v165, v43, v43
	s_wait_alu 0xfffd
	v_cndmask_b32_e32 v9, v62, v9, vcc_lo
	v_cmp_nlg_f32_e64 vcc_lo, 0x7f800000, |v97|
	v_cvt_pk_bf8_f32 v163, v96, v96
	v_perm_b32 v8, v8, v86, 0xc0c0500
	s_delay_alu instid0(VALU_DEP_4)
	v_cvt_pk_bf8_f32 v166, v9, v9
	s_wait_alu 0xfffd
	v_cndmask_b32_e32 v97, v63, v97, vcc_lo
	v_cmp_nlg_f32_e64 vcc_lo, 0x7f800000, |v44|
	v_cvt_pk_bf8_f32 v164, v42, v42
	v_and_b32_e32 v9, 0xff, v162
	v_and_b32_e32 v87, 0xff, v166
	v_cvt_pk_bf8_f32 v167, v97, v97
	s_wait_alu 0xfffd
	v_cndmask_b32_e32 v44, v72, v44, vcc_lo
	v_cmp_nlg_f32_e64 vcc_lo, 0x7f800000, |v45|
	v_lshlrev_b32_e32 v9, 16, v9
	v_lshlrev_b32_e32 v86, 16, v87
	s_wait_alu 0xfffd
	v_dual_cndmask_b32 v45, v73, v45 :: v_dual_lshlrev_b32 v96, 24, v167
	v_cmp_nlg_f32_e64 vcc_lo, 0x7f800000, |v10|
	v_cvt_pk_bf8_f32 v176, v44, v44
	s_delay_alu instid0(VALU_DEP_3)
	v_cvt_pk_bf8_f32 v177, v45, v45
	s_wait_alu 0xfffd
	v_cndmask_b32_e32 v10, v74, v10, vcc_lo
	v_cmp_nlg_f32_e64 vcc_lo, 0x7f800000, |v98|
	s_wait_alu 0xfffd
	v_dual_cndmask_b32 v98, v75, v98 :: v_dual_lshlrev_b32 v97, 8, v177
	v_cmp_nlg_f32_e64 vcc_lo, 0x7f800000, |v46|
	s_delay_alu instid0(VALU_DEP_2)
	v_perm_b32 v97, v97, v176, 0xc0c0500
	s_wait_alu 0xfffd
	v_cndmask_b32_e32 v46, v76, v46, vcc_lo
	v_cmp_nlg_f32_e64 vcc_lo, 0x7f800000, |v47|
	s_wait_alu 0xfffd
	v_cndmask_b32_e32 v47, v77, v47, vcc_lo
	v_cmp_nlg_f32_e64 vcc_lo, 0x7f800000, |v11|
	v_cvt_pk_bf8_f32 v178, v10, v10
	v_lshlrev_b32_e32 v10, 24, v163
	s_delay_alu instid0(VALU_DEP_4)
	v_cvt_pk_bf8_f32 v181, v47, v47
	s_wait_alu 0xfffd
	v_cndmask_b32_e32 v11, v78, v11, vcc_lo
	v_cmp_nlg_f32_e64 vcc_lo, 0x7f800000, |v99|
	v_cvt_pk_bf8_f32 v179, v98, v98
	v_and_b32_e32 v98, 0xff, v178
	v_lshlrev_b32_e32 v162, 8, v181
	v_cvt_pk_bf8_f32 v182, v11, v11
	s_wait_alu 0xfffd
	v_cndmask_b32_e32 v99, v79, v99, vcc_lo
	v_cvt_pk_bf8_f32 v180, v46, v46
	v_lshlrev_b32_e32 v11, 8, v165
	v_lshlrev_b32_e32 v87, 16, v98
	v_and_b32_e32 v163, 0xff, v182
	v_cvt_pk_bf8_f32 v183, v99, v99
	v_lshlrev_b32_e32 v99, 24, v179
	v_perm_b32 v11, v11, v164, 0xc0c0500
	v_perm_b32 v162, v162, v180, 0xc0c0500
	v_lshlrev_b32_e32 v98, 16, v163
	v_lshlrev_b32_e32 v165, 24, v183
	v_or3_b32 v8, v10, v9, v8
	v_or3_b32 v9, v96, v86, v11
	;; [unrolled: 1-line block ×3, first 2 shown]
	s_delay_alu instid0(VALU_DEP_4)
	v_or3_b32 v11, v165, v98, v162
.LBB4_583:                              ;   Parent Loop BB4_47 Depth=1
                                        ;     Parent Loop BB4_495 Depth=2
                                        ;       Parent Loop BB4_582 Depth=3
                                        ; =>      This Inner Loop Header: Depth=4
	s_wait_alu 0xfffe
	s_cmp_eq_u32 s16, 1
	s_cselect_b32 vcc_lo, -1, 0
	s_cmp_eq_u32 s16, 0
	s_wait_alu 0xfffe
	v_dual_cndmask_b32 v87, v20, v85 :: v_dual_cndmask_b32 v86, v18, v84
	s_mov_b64 s[16:17], 1
	s_delay_alu instid0(VALU_DEP_1) | instskip(SKIP_1) | instid1(VALU_DEP_2)
	v_add_co_u32 v96, s14, 0x200, v86
	s_wait_alu 0xf1ff
	v_add_co_ci_u32_e64 v97, null, 0, v87, s14
	s_cselect_b32 s14, -1, 0
	s_and_b32 s15, exec_lo, s21
	v_dual_cndmask_b32 v84, v84, v96 :: v_dual_cndmask_b32 v85, v85, v97
	s_wait_alu 0xfffe
	v_cndmask_b32_e64 v20, v20, v97, s14
	v_cndmask_b32_e64 v18, v18, v96, s14
	s_mov_b32 s21, 0
	s_mov_b32 vcc_lo, s15
	global_store_b128 v[86:87], v[8:11], off th:TH_STORE_NT
	s_wait_alu 0xfffe
	s_cbranch_vccnz .LBB4_583
; %bb.584:                              ;   in Loop: Header=BB4_582 Depth=3
	v_add_co_u32 v12, vcc_lo, v12, v144
	v_sub_nc_u32_e32 v17, v17, v117
	s_wait_alu 0xfffd
	v_add_co_ci_u32_e64 v13, null, v13, v145, vcc_lo
	v_add_co_u32 v14, vcc_lo, v14, v144
	s_wait_alu 0xfffd
	v_add_co_ci_u32_e64 v15, null, v15, v145, vcc_lo
	v_add_co_u32 v18, vcc_lo, v18, v128
	s_wait_alu 0xfffd
	v_add_co_ci_u32_e64 v20, null, v20, v131, vcc_lo
	v_cmp_gt_i32_e32 vcc_lo, 16, v17
	v_add_co_u32 v84, s14, v84, v128
	s_wait_alu 0xf1ff
	v_add_co_ci_u32_e64 v85, null, v85, v131, s14
	v_sub_nc_u32_e32 v23, v23, v103
	s_or_b32 s20, vcc_lo, s20
	s_wait_alu 0xfffe
	s_and_not1_b32 exec_lo, exec_lo, s20
	s_cbranch_execnz .LBB4_582
; %bb.585:                              ;   in Loop: Header=BB4_495 Depth=2
	s_or_b32 exec_lo, exec_lo, s20
.LBB4_586:                              ;   in Loop: Header=BB4_495 Depth=2
	s_delay_alu instid0(SALU_CYCLE_1) | instskip(SKIP_4) | instid1(VALU_DEP_2)
	s_or_b32 exec_lo, exec_lo, s19
	v_and_b32_e32 v9, 15, v161
	v_mov_b32_e32 v17, 0
	s_mov_b32 s14, 0
	s_mov_b32 s15, exec_lo
                                        ; implicit-def: $vgpr20
                                        ; implicit-def: $vgpr8
	v_cndmask_b32_e64 v18, v22, v9, s13
	s_delay_alu instid0(VALU_DEP_1)
	v_cmpx_ne_u32_e32 0, v18
	s_cbranch_execz .LBB4_588
; %bb.587:                              ;   in Loop: Header=BB4_495 Depth=2
	v_cmp_lt_i32_e32 vcc_lo, 0, v23
	v_sub_nc_u32_e32 v9, v22, v9
	s_mov_b32 s14, exec_lo
	s_wait_alu 0xfffd
	v_cndmask_b32_e32 v8, 0, v103, vcc_lo
	s_delay_alu instid0(VALU_DEP_2) | instskip(NEXT) | instid1(VALU_DEP_2)
	v_cndmask_b32_e64 v9, 0, v9, s13
	v_sub_nc_u32_e32 v8, v8, v23
	s_delay_alu instid0(VALU_DEP_2) | instskip(NEXT) | instid1(VALU_DEP_2)
	v_add3_u32 v17, v19, v16, v9
	v_lshl_add_u32 v20, v8, 5, v21
	s_delay_alu instid0(VALU_DEP_1) | instskip(NEXT) | instid1(VALU_DEP_1)
	v_ashrrev_i32_e32 v8, 31, v20
	v_lshrrev_b32_e32 v8, 27, v8
	s_delay_alu instid0(VALU_DEP_1) | instskip(NEXT) | instid1(VALU_DEP_1)
	v_add_nc_u32_e32 v8, v20, v8
	v_ashrrev_i32_e32 v8, 5, v8
.LBB4_588:                              ;   in Loop: Header=BB4_495 Depth=2
	s_wait_alu 0xfffe
	s_or_b32 exec_lo, exec_lo, s15
	s_delay_alu instid0(SALU_CYCLE_1)
	s_and_b32 s13, s14, exec_lo
.LBB4_589:                              ;   in Loop: Header=BB4_495 Depth=2
	s_wait_alu 0xfffe
	s_or_b32 exec_lo, exec_lo, s18
	s_and_saveexec_b32 s29, s13
	s_cbranch_execz .LBB4_600
.LBB4_590:                              ;   in Loop: Header=BB4_495 Depth=2
	v_ashrrev_i32_e32 v9, 31, v18
	s_mov_b32 s40, exec_lo
	s_delay_alu instid0(VALU_DEP_1) | instskip(NEXT) | instid1(VALU_DEP_1)
	v_lshrrev_b32_e32 v9, 23, v9
	v_add_nc_u32_e32 v9, v18, v9
	s_delay_alu instid0(VALU_DEP_1) | instskip(SKIP_1) | instid1(VALU_DEP_2)
	v_ashrrev_i32_e32 v21, 9, v9
	v_ashrrev_i32_e32 v9, 31, v20
	v_sub_nc_u32_e32 v16, v21, v8
	s_delay_alu instid0(VALU_DEP_2) | instskip(NEXT) | instid1(VALU_DEP_2)
	v_lshrrev_b32_e32 v19, 27, v9
	v_cmpx_lt_i32_e32 0, v16
	s_cbranch_execz .LBB4_594
; %bb.591:                              ;   in Loop: Header=BB4_495 Depth=2
	s_delay_alu instid0(VALU_DEP_2)
	v_add_nc_u32_e32 v9, v20, v19
	s_trap 2
	ds_load_b64 v[14:15], v0
	v_lshlrev_b32_e32 v8, 9, v8
	s_mov_b32 s41, 0
	v_and_b32_e32 v9, 0xffffffe0, v9
	s_delay_alu instid0(VALU_DEP_1) | instskip(NEXT) | instid1(VALU_DEP_1)
	v_sub_nc_u32_e32 v9, v20, v9
	v_add3_u32 v22, v17, v9, v8
	s_delay_alu instid0(VALU_DEP_1) | instskip(SKIP_2) | instid1(VALU_DEP_2)
	v_ashrrev_i32_e32 v23, 31, v22
	v_add_co_u32 v8, vcc_lo, v22, v80
	s_wait_alu 0xfffd
	v_add_co_ci_u32_e64 v9, null, v23, v81, vcc_lo
	v_add_co_u32 v10, vcc_lo, v22, v82
	s_wait_alu 0xfffd
	v_add_co_ci_u32_e64 v11, null, v23, v83, vcc_lo
	;; [unrolled: 3-line block ×3, first 2 shown]
	s_wait_dscnt 0x0
	v_add_co_u32 v14, vcc_lo, v14, v22
	s_wait_alu 0xfffd
	v_add_co_ci_u32_e64 v15, null, v15, v23, vcc_lo
.LBB4_592:                              ;   Parent Loop BB4_47 Depth=1
                                        ;     Parent Loop BB4_495 Depth=2
                                        ; =>    This Inner Loop Header: Depth=3
	flat_load_u8 v22, v[12:13] th:TH_LOAD_NT
	flat_load_u8 v23, v[14:15] th:TH_LOAD_NT
	flat_load_u8 v82, v[12:13] offset:32 th:TH_LOAD_NT
	flat_load_u8 v83, v[14:15] offset:32 th:TH_LOAD_NT
	;; [unrolled: 1-line block ×30, first 2 shown]
	v_dual_mov_b32 v46, 0 :: v_dual_mov_b32 v47, 0
	v_dual_mov_b32 v56, 0 :: v_dual_mov_b32 v57, 0
	;; [unrolled: 1-line block ×8, first 2 shown]
	v_sub_nc_u32_e32 v16, v16, v103
	v_add_co_u32 v12, vcc_lo, v12, v117
	s_wait_alu 0xfffd
	v_add_co_ci_u32_e64 v13, null, 0, v13, vcc_lo
	v_add_co_u32 v14, vcc_lo, v14, v117
	s_wait_alu 0xfffd
	v_add_co_ci_u32_e64 v15, null, 0, v15, vcc_lo
	v_cmp_gt_i32_e32 vcc_lo, 1, v16
	s_wait_alu 0xfffe
	s_or_b32 s41, vcc_lo, s41
	s_wait_loadcnt_dscnt 0x1f1f
	v_cvt_f32_bf8_e32 v22, v22
	s_wait_loadcnt_dscnt 0x1e1e
	v_cvt_f32_bf8_e32 v23, v23
	;; [unrolled: 2-line block ×32, first 2 shown]
	v_mul_f32_e32 v22, v22, v23
	v_dual_mul_f32 v23, v82, v83 :: v_dual_mul_f32 v82, v84, v85
	v_dual_mul_f32 v83, v86, v87 :: v_dual_mul_f32 v84, v96, v97
	v_mul_f32_e32 v85, v98, v99
	v_dual_mul_f32 v86, v162, v163 :: v_dual_mul_f32 v97, v176, v177
	v_dual_mul_f32 v87, v164, v165 :: v_dual_mul_f32 v96, v166, v167
	;; [unrolled: 1-line block ×5, first 2 shown]
	v_med3_num_f32 v166, v22, s89, 0xc7600000
	v_cmp_nlg_f32_e64 s28, 0x7f800000, |v22|
	v_med3_num_f32 v167, v23, s89, 0xc7600000
	v_cmp_nlg_f32_e64 s13, 0x7f800000, |v23|
	;; [unrolled: 2-line block ×16, first 2 shown]
	s_wait_alu 0xf1ff
	v_cndmask_b32_e64 v22, v166, v22, s28
	v_cndmask_b32_e64 v23, v167, v23, s13
	;; [unrolled: 1-line block ×16, first 2 shown]
	v_cvt_pk_bf8_f32 v46, v22, v22
	v_cvt_pk_bf8_f32 v47, v23, v23
	;; [unrolled: 1-line block ×16, first 2 shown]
	s_clause 0xf
	flat_store_b8 v[8:9], v46 th:TH_STORE_NT
	flat_store_b8 v[8:9], v47 offset:32 th:TH_STORE_NT
	flat_store_b8 v[8:9], v56 offset:64 th:TH_STORE_NT
	;; [unrolled: 1-line block ×15, first 2 shown]
	s_clause 0xf
	flat_store_b8 v[10:11], v46 th:TH_STORE_NT
	flat_store_b8 v[10:11], v47 offset:32 th:TH_STORE_NT
	flat_store_b8 v[10:11], v56 offset:64 th:TH_STORE_NT
	;; [unrolled: 1-line block ×15, first 2 shown]
	v_add_co_u32 v8, s13, v8, v117
	s_wait_alu 0xf1ff
	v_add_co_ci_u32_e64 v9, null, 0, v9, s13
	v_add_co_u32 v10, s13, v10, v117
	s_wait_alu 0xf1ff
	v_add_co_ci_u32_e64 v11, null, 0, v11, s13
	s_wait_alu 0xfffe
	s_and_not1_b32 exec_lo, exec_lo, s41
	s_cbranch_execnz .LBB4_592
; %bb.593:                              ;   in Loop: Header=BB4_495 Depth=2
	s_or_b32 exec_lo, exec_lo, s41
.LBB4_594:                              ;   in Loop: Header=BB4_495 Depth=2
	s_wait_alu 0xfffe
	s_or_b32 exec_lo, exec_lo, s40
	v_lshlrev_b32_e32 v8, 9, v21
	s_delay_alu instid0(VALU_DEP_1)
	v_cmp_ne_u32_e32 vcc_lo, v18, v8
	s_and_b32 exec_lo, exec_lo, vcc_lo
	s_cbranch_execz .LBB4_600
; %bb.595:                              ;   in Loop: Header=BB4_495 Depth=2
	v_add_nc_u32_e32 v9, v20, v19
	v_lshlrev_b32_e32 v10, 5, v16
	s_delay_alu instid0(VALU_DEP_2) | instskip(NEXT) | instid1(VALU_DEP_1)
	v_and_b32_e32 v9, 0xffffffe0, v9
	v_sub_nc_u32_e32 v9, v20, v9
	s_delay_alu instid0(VALU_DEP_1) | instskip(NEXT) | instid1(VALU_DEP_1)
	v_sub_nc_u32_e32 v9, v9, v10
	v_add_nc_u32_e32 v8, v8, v9
	s_delay_alu instid0(VALU_DEP_1) | instskip(NEXT) | instid1(VALU_DEP_1)
	v_sub_nc_u32_e32 v16, v18, v8
	v_cmp_lt_i32_e32 vcc_lo, 0, v16
	s_and_b32 exec_lo, exec_lo, vcc_lo
	s_cbranch_execz .LBB4_600
; %bb.596:                              ;   in Loop: Header=BB4_495 Depth=2
	s_trap 2
	ds_load_b128 v[9:12], v0
	v_add_nc_u32_e32 v13, v8, v17
	s_mov_b32 s15, 0
	s_delay_alu instid0(VALU_DEP_1) | instskip(SKIP_3) | instid1(VALU_DEP_2)
	v_ashrrev_i32_e32 v14, 31, v13
	s_wait_dscnt 0x0
	v_add_co_u32 v8, vcc_lo, v9, v13
	s_wait_alu 0xfffd
	v_add_co_ci_u32_e64 v9, null, v10, v14, vcc_lo
	v_add_co_u32 v10, vcc_lo, v11, v13
	s_wait_alu 0xfffd
	v_add_co_ci_u32_e64 v11, null, v12, v14, vcc_lo
	s_delay_alu instid0(VALU_DEP_3) | instskip(NEXT) | instid1(VALU_DEP_2)
	v_dual_mov_b32 v13, v9 :: v_dual_mov_b32 v12, v8
	v_dual_mov_b32 v15, v11 :: v_dual_mov_b32 v14, v10
.LBB4_597:                              ;   Parent Loop BB4_47 Depth=1
                                        ;     Parent Loop BB4_495 Depth=2
                                        ; =>    This Loop Header: Depth=3
                                        ;         Child Loop BB4_598 Depth 4
	flat_load_u8 v17, v[14:15] th:TH_LOAD_NT
	flat_load_u8 v18, v[12:13] th:TH_LOAD_NT
	s_mov_b64 s[16:17], 0
	s_mov_b32 s18, -1
	s_wait_loadcnt_dscnt 0x101
	v_cvt_f32_bf8_e32 v17, v17
	s_wait_loadcnt_dscnt 0x0
	v_cvt_f32_bf8_e32 v18, v18
	s_delay_alu instid0(VALU_DEP_1) | instskip(NEXT) | instid1(VALU_DEP_1)
	v_mul_f32_e32 v17, v17, v18
	v_med3_num_f32 v18, v17, s89, 0xc7600000
	v_cmp_nlg_f32_e64 vcc_lo, 0x7f800000, |v17|
	s_wait_alu 0xfffd
	s_delay_alu instid0(VALU_DEP_2) | instskip(NEXT) | instid1(VALU_DEP_1)
	v_dual_cndmask_b32 v18, v18, v17 :: v_dual_mov_b32 v17, 0
	v_cvt_pk_bf8_f32 v17, v18, v18
.LBB4_598:                              ;   Parent Loop BB4_47 Depth=1
                                        ;     Parent Loop BB4_495 Depth=2
                                        ;       Parent Loop BB4_597 Depth=3
                                        ; =>      This Inner Loop Header: Depth=4
	s_wait_alu 0xfffe
	s_cmp_eq_u32 s16, 1
	s_cselect_b32 vcc_lo, -1, 0
	s_cmp_eq_u32 s16, 0
	s_wait_alu 0xfffe
	v_dual_cndmask_b32 v19, v9, v11 :: v_dual_cndmask_b32 v18, v8, v10
	s_mov_b64 s[16:17], 1
	s_delay_alu instid0(VALU_DEP_1) | instskip(SKIP_1) | instid1(VALU_DEP_2)
	v_add_co_u32 v20, s13, v18, 32
	s_wait_alu 0xf1ff
	v_add_co_ci_u32_e64 v21, null, 0, v19, s13
	s_cselect_b32 s13, -1, 0
	s_and_b32 s14, exec_lo, s18
	v_dual_cndmask_b32 v10, v10, v20 :: v_dual_cndmask_b32 v11, v11, v21
	s_wait_alu 0xfffe
	v_cndmask_b32_e64 v9, v9, v21, s13
	v_cndmask_b32_e64 v8, v8, v20, s13
	s_mov_b32 s18, 0
	s_mov_b32 vcc_lo, s14
	flat_store_b8 v[18:19], v17 th:TH_STORE_NT
	s_wait_alu 0xfffe
	s_cbranch_vccnz .LBB4_598
; %bb.599:                              ;   in Loop: Header=BB4_597 Depth=3
	v_add_co_u32 v12, vcc_lo, v12, v133
	v_sub_nc_u32_e32 v16, v16, v112
	s_wait_alu 0xfffd
	v_add_co_ci_u32_e64 v13, null, v13, v134, vcc_lo
	v_add_co_u32 v14, vcc_lo, v14, v133
	s_wait_alu 0xfffd
	v_add_co_ci_u32_e64 v15, null, v15, v134, vcc_lo
	v_add_co_u32 v8, vcc_lo, v8, v119
	s_wait_alu 0xfffd
	v_add_co_ci_u32_e64 v9, null, v9, v129, vcc_lo
	v_cmp_gt_i32_e32 vcc_lo, 1, v16
	v_add_co_u32 v10, s13, v10, v119
	s_wait_alu 0xf1ff
	v_add_co_ci_u32_e64 v11, null, v11, v129, s13
	s_or_b32 s15, vcc_lo, s15
	s_wait_alu 0xfffe
	s_and_not1_b32 exec_lo, exec_lo, s15
	s_cbranch_execnz .LBB4_597
.LBB4_600:                              ;   in Loop: Header=BB4_495 Depth=2
	s_wait_alu 0xfffe
	s_or_b32 exec_lo, exec_lo, s29
	s_mov_b32 s13, 0
.LBB4_601:                              ;   in Loop: Header=BB4_495 Depth=2
	s_wait_alu 0xfffe
	s_and_b32 vcc_lo, exec_lo, s13
	s_wait_alu 0xfffe
	s_cbranch_vccz .LBB4_630
; %bb.602:                              ;   in Loop: Header=BB4_495 Depth=2
	s_mov_b32 s13, -1
	s_and_saveexec_b32 s14, s12
	s_cbranch_execz .LBB4_604
; %bb.603:                              ;   in Loop: Header=BB4_495 Depth=2
	ds_load_b32 v8, v0 offset:720
	s_wait_dscnt 0x0
	v_and_b32_e32 v8, 15, v8
	s_delay_alu instid0(VALU_DEP_1)
	v_cmp_eq_u32_e32 vcc_lo, 0, v8
	s_or_not1_b32 s13, vcc_lo, exec_lo
.LBB4_604:                              ;   in Loop: Header=BB4_495 Depth=2
	s_wait_alu 0xfffe
	s_or_b32 exec_lo, exec_lo, s14
	s_and_saveexec_b32 s14, s7
	s_cbranch_execz .LBB4_606
; %bb.605:                              ;   in Loop: Header=BB4_495 Depth=2
	ds_load_b32 v8, v0 offset:784
	s_wait_dscnt 0x0
	v_and_b32_e32 v8, 15, v8
	s_delay_alu instid0(VALU_DEP_1)
	v_cmp_eq_u32_e32 vcc_lo, 0, v8
	s_and_b32 s15, s13, vcc_lo
	s_and_not1_b32 s13, s13, exec_lo
	s_wait_alu 0xfffe
	s_and_b32 s15, s15, exec_lo
	s_wait_alu 0xfffe
	s_or_b32 s13, s13, s15
.LBB4_606:                              ;   in Loop: Header=BB4_495 Depth=2
	s_wait_alu 0xfffe
	s_or_b32 exec_lo, exec_lo, s14
	s_xor_b32 s13, s13, -1
	v_dual_mov_b32 v14, 0 :: v_dual_mov_b32 v15, v161
	s_wait_alu 0xfffe
	v_cndmask_b32_e64 v8, 0, 1, s13
	v_mov_b32_e32 v17, v0
	s_mov_b32 s13, -1
	s_delay_alu instid0(VALU_DEP_2)
	v_cmp_ne_u32_e32 vcc_lo, 0, v8
	v_mov_b32_e32 v8, v130
	s_cbranch_vccz .LBB4_608
; %bb.607:                              ;   in Loop: Header=BB4_495 Depth=2
	s_wait_alu 0xfffe
	s_and_saveexec_b32 s29, s13
	s_cbranch_execnz .LBB4_621
	s_branch .LBB4_629
.LBB4_608:                              ;   in Loop: Header=BB4_495 Depth=2
	v_ashrrev_i32_e32 v8, 31, v161
	s_mov_b32 s39, exec_lo
	s_delay_alu instid0(VALU_DEP_1) | instskip(NEXT) | instid1(VALU_DEP_1)
	v_lshrrev_b32_e32 v8, 22, v8
	v_add_nc_u32_e32 v8, v161, v8
	s_delay_alu instid0(VALU_DEP_1) | instskip(NEXT) | instid1(VALU_DEP_1)
	v_ashrrev_i32_e32 v97, 10, v8
	v_sub_nc_u32_e32 v96, v97, v130
	s_delay_alu instid0(VALU_DEP_1)
	v_cmpx_lt_i32_e32 0, v96
	s_cbranch_execz .LBB4_612
; %bb.609:                              ;   in Loop: Header=BB4_495 Depth=2
	s_trap 2
	ds_load_b64 v[8:9], v0
	v_add_co_u32 v82, vcc_lo, v69, v146
	s_wait_alu 0xfffd
	v_add_co_ci_u32_e64 v83, null, v70, v148, vcc_lo
	s_mov_b32 s48, 0
	s_wait_dscnt 0x0
	v_add_co_u32 v84, vcc_lo, v8, v146
	s_wait_alu 0xfffd
	v_add_co_ci_u32_e64 v85, null, v9, v148, vcc_lo
	v_add_co_u32 v86, vcc_lo, v80, v146
	s_wait_alu 0xfffd
	v_add_co_ci_u32_e64 v87, null, v81, v148, vcc_lo
.LBB4_610:                              ;   Parent Loop BB4_47 Depth=1
                                        ;     Parent Loop BB4_495 Depth=2
                                        ; =>    This Inner Loop Header: Depth=3
	global_load_b128 v[16:19], v[82:83], off th:TH_LOAD_NT
	global_load_b128 v[20:23], v[84:85], off th:TH_LOAD_NT
	global_load_b128 v[8:11], v[82:83], off offset:512 th:TH_LOAD_NT
	global_load_b128 v[12:15], v[84:85], off offset:512 th:TH_LOAD_NT
	v_dual_mov_b32 v162, 0 :: v_dual_mov_b32 v165, 0
	v_dual_mov_b32 v163, 0 :: v_dual_mov_b32 v164, 0
	;; [unrolled: 1-line block ×16, first 2 shown]
	v_sub_nc_u32_e32 v96, v96, v103
	v_add_co_u32 v82, vcc_lo, v82, v118
	s_wait_alu 0xfffd
	v_add_co_ci_u32_e64 v83, null, 0, v83, vcc_lo
	v_add_co_u32 v84, vcc_lo, v84, v118
	s_wait_alu 0xfffd
	v_add_co_ci_u32_e64 v85, null, 0, v85, vcc_lo
	v_cmp_gt_i32_e32 vcc_lo, 1, v96
	s_wait_alu 0xfffe
	s_or_b32 s48, vcc_lo, s48
	s_wait_loadcnt 0x3
	v_bfe_u32 v74, v16, 8, 8
	s_wait_loadcnt 0x2
	v_bfe_u32 v75, v20, 8, 8
	v_lshrrev_b32_e32 v76, 24, v16
	v_lshrrev_b32_e32 v77, 24, v20
	;; [unrolled: 1-line block ×4, first 2 shown]
	v_cvt_f32_bf8_e32 v74, v74
	v_cvt_f32_bf8_e32 v75, v75
	v_and_b32_e32 v72, 0xff, v16
	v_bfe_u32 v16, v16, 16, 8
	v_cvt_f32_bf8_e32 v76, v76
	v_cvt_f32_bf8_e32 v77, v77
	v_and_b32_e32 v73, 0xff, v20
	v_bfe_u32 v20, v20, 16, 8
	v_bfe_u32 v88, v17, 8, 8
	;; [unrolled: 1-line block ×3, first 2 shown]
	v_cvt_f32_bf8_e32 v16, v16
	v_cvt_f32_bf8_e32 v90, v90
	;; [unrolled: 1-line block ×3, first 2 shown]
	v_and_b32_e32 v79, 0xff, v21
	v_bfe_u32 v21, v21, 16, 8
	v_cvt_f32_bf8_e32 v91, v91
	v_and_b32_e32 v78, 0xff, v17
	v_bfe_u32 v17, v17, 16, 8
	v_bfe_u32 v94, v18, 8, 8
	;; [unrolled: 1-line block ×3, first 2 shown]
	v_cvt_f32_bf8_e32 v72, v72
	v_cvt_f32_bf8_e32 v88, v88
	;; [unrolled: 1-line block ×3, first 2 shown]
	v_and_b32_e32 v92, 0xff, v18
	v_cvt_f32_bf8_e32 v17, v17
	v_cvt_f32_bf8_e32 v21, v21
	v_mul_f32_e32 v16, v16, v20
	v_mul_f32_e32 v20, v76, v77
	v_cvt_f32_bf8_e32 v73, v73
	v_and_b32_e32 v93, 0xff, v22
	v_lshrrev_b32_e32 v104, 24, v18
	v_lshrrev_b32_e32 v105, 24, v22
	v_bfe_u32 v108, v19, 8, 8
	v_bfe_u32 v109, v23, 8, 8
	;; [unrolled: 1-line block ×4, first 2 shown]
	v_dual_mul_f32 v17, v17, v21 :: v_dual_and_b32 v106, 0xff, v19
	v_lshrrev_b32_e32 v110, 24, v19
	v_lshrrev_b32_e32 v111, 24, v23
	v_bfe_u32 v19, v19, 16, 8
	s_wait_loadcnt 0x1
	v_bfe_u32 v136, v9, 8, 8
	s_wait_loadcnt 0x0
	v_bfe_u32 v137, v13, 8, 8
	v_cvt_f32_bf8_e32 v79, v79
	v_cvt_f32_bf8_e32 v94, v94
	;; [unrolled: 1-line block ×3, first 2 shown]
	v_and_b32_e32 v120, 0xff, v8
	v_mul_f32_e32 v72, v72, v73
	v_cvt_f32_bf8_e32 v93, v93
	v_mul_f32_e32 v73, v74, v75
	v_mul_f32_e32 v75, v88, v89
	v_cvt_f32_bf8_e32 v92, v92
	v_and_b32_e32 v107, 0xff, v23
	v_bfe_u32 v23, v23, 16, 8
	v_mul_f32_e32 v21, v90, v91
	v_cvt_f32_bf8_e32 v78, v78
	v_and_b32_e32 v121, 0xff, v12
	v_bfe_u32 v142, v10, 8, 8
	v_bfe_u32 v143, v14, 8, 8
	v_lshrrev_b32_e32 v152, 24, v10
	v_lshrrev_b32_e32 v153, 24, v14
	v_cvt_f32_bf8_e32 v104, v104
	v_cvt_f32_bf8_e32 v105, v105
	v_and_b32_e32 v141, 0xff, v14
	v_bfe_u32 v14, v14, 16, 8
	v_cvt_f32_bf8_e32 v108, v108
	v_cvt_f32_bf8_e32 v109, v109
	v_and_b32_e32 v140, 0xff, v10
	v_bfe_u32 v10, v10, 16, 8
	v_lshrrev_b32_e32 v138, 24, v9
	v_lshrrev_b32_e32 v139, 24, v13
	v_bfe_u32 v156, v11, 8, 8
	v_bfe_u32 v157, v15, 8, 8
	v_lshrrev_b32_e32 v158, 24, v11
	v_lshrrev_b32_e32 v159, 24, v15
	v_cvt_f32_bf8_e32 v18, v18
	v_cvt_f32_bf8_e32 v22, v22
	v_and_b32_e32 v127, 0xff, v13
	v_bfe_u32 v13, v13, 16, 8
	v_cvt_f32_bf8_e32 v106, v106
	v_cvt_f32_bf8_e32 v19, v19
	v_cvt_f32_bf8_e32 v23, v23
	v_and_b32_e32 v126, 0xff, v9
	v_bfe_u32 v9, v9, 16, 8
	v_cvt_f32_bf8_e32 v136, v136
	v_cvt_f32_bf8_e32 v137, v137
	v_and_b32_e32 v154, 0xff, v11
	v_bfe_u32 v11, v11, 16, 8
	v_mul_f32_e32 v74, v78, v79
	v_cvt_f32_bf8_e32 v121, v121
	v_mul_f32_e32 v76, v92, v93
	v_cvt_f32_bf8_e32 v107, v107
	;; [unrolled: 2-line block ×3, first 2 shown]
	v_and_b32_e32 v155, 0xff, v15
	v_bfe_u32 v15, v15, 16, 8
	v_cvt_f32_bf8_e32 v10, v10
	v_cvt_f32_bf8_e32 v14, v14
	v_mul_f32_e32 v79, v108, v109
	v_med3_num_f32 v109, v75, s89, 0xc7600000
	v_cmp_nlg_f32_e64 s17, 0x7f800000, |v75|
	v_bfe_u32 v122, v8, 8, 8
	v_bfe_u32 v123, v12, 8, 8
	v_lshrrev_b32_e32 v124, 24, v8
	v_lshrrev_b32_e32 v125, 24, v12
	v_bfe_u32 v8, v8, 16, 8
	v_bfe_u32 v12, v12, 16, 8
	v_cvt_f32_bf8_e32 v9, v9
	v_cvt_f32_bf8_e32 v13, v13
	;; [unrolled: 1-line block ×4, first 2 shown]
	v_mul_f32_e32 v78, v106, v107
	v_med3_num_f32 v107, v20, s89, 0xc7600000
	v_cmp_nlg_f32_e64 s15, 0x7f800000, |v20|
	v_mul_f32_e32 v88, v120, v121
	v_cvt_f32_bf8_e32 v155, v155
	v_mul_f32_e32 v91, v136, v137
	v_cvt_f32_bf8_e32 v154, v154
	v_dual_mul_f32 v10, v10, v14 :: v_dual_mul_f32 v11, v11, v15
	s_wait_alu 0xf1ff
	v_cndmask_b32_e64 v75, v109, v75, s17
	v_cvt_f32_bf8_e32 v110, v110
	v_cvt_f32_bf8_e32 v111, v111
	;; [unrolled: 1-line block ×12, first 2 shown]
	v_mul_f32_e32 v18, v18, v22
	v_cvt_f32_bf8_e32 v127, v127
	v_mul_f32_e32 v19, v19, v23
	v_cvt_f32_bf8_e32 v126, v126
	v_cndmask_b32_e64 v20, v107, v20, s15
	v_cvt_f32_bf8_e32 v124, v124
	v_cvt_f32_bf8_e32 v125, v125
	;; [unrolled: 1-line block ×4, first 2 shown]
	v_cmp_nlg_f32_e64 s56, 0x7f800000, |v10|
	v_cvt_pk_bf8_f32 v165, v75, v75
	v_mul_f32_e32 v94, v154, v155
	v_med3_num_f32 v154, v10, s89, 0xc7600000
	v_cvt_f32_bf8_e32 v138, v138
	v_cvt_f32_bf8_e32 v139, v139
	;; [unrolled: 1-line block ×3, first 2 shown]
	v_mul_f32_e32 v22, v104, v105
	v_cvt_f32_bf8_e32 v141, v141
	v_dual_mul_f32 v23, v110, v111 :: v_dual_mul_f32 v8, v8, v12
	v_dual_mul_f32 v89, v122, v123 :: v_dual_mul_f32 v12, v124, v125
	;; [unrolled: 1-line block ×3, first 2 shown]
	v_mul_f32_e32 v9, v9, v13
	v_dual_mul_f32 v93, v142, v143 :: v_dual_mul_f32 v14, v152, v153
	v_cmp_nlg_f32_e64 s60, 0x7f800000, |v11|
	v_cvt_pk_bf8_f32 v164, v20, v20
	v_mul_f32_e32 v15, v158, v159
	v_med3_num_f32 v158, v11, s89, 0xc7600000
	v_med3_num_f32 v105, v73, s89, 0xc7600000
	v_cmp_nlg_f32_e64 s13, 0x7f800000, |v73|
	v_med3_num_f32 v106, v16, s89, 0xc7600000
	v_cmp_nlg_f32_e64 s14, 0x7f800000, |v16|
	;; [unrolled: 2-line block ×7, first 2 shown]
	s_wait_alu 0xf1ff
	v_cndmask_b32_e64 v10, v154, v10, s56
	v_dual_mul_f32 v13, v138, v139 :: v_dual_mul_f32 v92, v140, v141
	v_med3_num_f32 v111, v21, s89, 0xc7600000
	v_cmp_nlg_f32_e64 s19, 0x7f800000, |v21|
	v_med3_num_f32 v137, v89, s89, 0xc7600000
	v_cmp_nlg_f32_e64 s29, 0x7f800000, |v89|
	;; [unrolled: 2-line block ×7, first 2 shown]
	v_cndmask_b32_e64 v11, v158, v11, s60
	v_med3_num_f32 v104, v72, s89, 0xc7600000
	v_med3_num_f32 v108, v74, s89, 0xc7600000
	v_cmp_nlg_f32_e64 s16, 0x7f800000, |v74|
	v_med3_num_f32 v120, v76, s89, 0xc7600000
	v_cmp_nlg_f32_e64 s20, 0x7f800000, |v76|
	;; [unrolled: 2-line block ×7, first 2 shown]
	v_cmp_nlg_f32_e64 s62, 0x7f800000, |v72|
	v_cndmask_b32_e64 v73, v105, v73, s13
	v_cndmask_b32_e64 v16, v106, v16, s14
	;; [unrolled: 1-line block ×7, first 2 shown]
	v_cvt_pk_bf8_f32 v58, v10, v10
	v_lshlrev_b32_e32 v10, 24, v164
	v_med3_num_f32 v159, v15, s89, 0xc7600000
	v_cmp_nlg_f32_e64 s61, 0x7f800000, |v15|
	v_med3_num_f32 v136, v88, s89, 0xc7600000
	v_cmp_nlg_f32_e64 s28, 0x7f800000, |v88|
	;; [unrolled: 2-line block ×5, first 2 shown]
	s_wait_alu 0xf1ff
	v_cndmask_b32_e64 v21, v111, v21, s19
	v_cndmask_b32_e64 v89, v137, v89, s29
	;; [unrolled: 1-line block ×7, first 2 shown]
	v_cvt_pk_bf8_f32 v62, v11, v11
	v_lshlrev_b32_e32 v11, 8, v165
	v_med3_num_f32 v156, v94, s89, 0xc7600000
	v_cmp_nlg_f32_e64 s58, 0x7f800000, |v94|
	v_cndmask_b32_e64 v72, v104, v72, s62
	v_cndmask_b32_e64 v74, v108, v74, s16
	;; [unrolled: 1-line block ×9, first 2 shown]
	v_cvt_pk_bf8_f32 v99, v73, v73
	v_cvt_pk_bf8_f32 v163, v16, v16
	;; [unrolled: 1-line block ×7, first 2 shown]
	v_cndmask_b32_e64 v88, v136, v88, s28
	v_cndmask_b32_e64 v90, v140, v90, s42
	;; [unrolled: 1-line block ×4, first 2 shown]
	s_wait_alu 0xf1ff
	v_cndmask_b32_e64 v94, v156, v94, s58
	v_cvt_pk_bf8_f32 v176, v21, v21
	v_cvt_pk_bf8_f32 v41, v89, v89
	;; [unrolled: 1-line block ×16, first 2 shown]
	v_lshlrev_b32_e32 v8, 8, v99
	v_and_b32_e32 v9, 0xff, v163
	v_and_b32_e32 v12, 0xff, v167
	v_lshlrev_b32_e32 v14, 8, v177
	v_and_b32_e32 v15, 0xff, v179
	v_lshlrev_b32_e32 v17, 8, v181
	v_and_b32_e32 v18, 0xff, v182
	v_cvt_pk_bf8_f32 v183, v88, v88
	v_cvt_pk_bf8_f32 v43, v90, v90
	;; [unrolled: 1-line block ×5, first 2 shown]
	v_lshlrev_b32_e32 v13, 24, v176
	v_lshlrev_b32_e32 v20, 8, v41
	v_and_b32_e32 v21, 0xff, v42
	v_lshlrev_b32_e32 v23, 8, v45
	v_and_b32_e32 v99, 0xff, v46
	;; [unrolled: 2-line block ×4, first 2 shown]
	v_lshlrev_b32_e32 v16, 24, v180
	v_lshlrev_b32_e32 v19, 24, v40
	;; [unrolled: 1-line block ×3, first 2 shown]
	v_perm_b32 v8, v8, v98, 0xc0c0500
	v_lshlrev_b32_e32 v12, 16, v12
	v_perm_b32 v11, v11, v162, 0xc0c0500
	v_lshlrev_b32_e32 v15, 16, v15
	;; [unrolled: 2-line block ×4, first 2 shown]
	v_lshlrev_b32_e32 v163, 24, v56
	v_lshlrev_b32_e32 v167, 24, v60
	;; [unrolled: 1-line block ×4, first 2 shown]
	v_perm_b32 v20, v20, v183, 0xc0c0500
	v_lshlrev_b32_e32 v98, 16, v99
	v_perm_b32 v23, v23, v43, 0xc0c0500
	v_lshlrev_b32_e32 v99, 16, v165
	;; [unrolled: 2-line block ×3, first 2 shown]
	v_perm_b32 v165, v176, v59, 0xc0c0500
	v_or3_b32 v8, v10, v9, v8
	v_or3_b32 v9, v13, v12, v11
	;; [unrolled: 1-line block ×8, first 2 shown]
	s_clause 0x1
	global_store_b128 v[86:87], v[8:11], off th:TH_STORE_NT
	global_store_b128 v[86:87], v[12:15], off offset:512 th:TH_STORE_NT
	v_add_co_u32 v86, s13, v86, v118
	s_wait_alu 0xf1ff
	v_add_co_ci_u32_e64 v87, null, 0, v87, s13
	s_wait_alu 0xfffe
	s_and_not1_b32 exec_lo, exec_lo, s48
	s_cbranch_execnz .LBB4_610
; %bb.611:                              ;   in Loop: Header=BB4_495 Depth=2
	s_or_b32 exec_lo, exec_lo, s48
.LBB4_612:                              ;   in Loop: Header=BB4_495 Depth=2
	s_wait_alu 0xfffe
	s_or_b32 exec_lo, exec_lo, s39
	v_lshlrev_b32_e32 v16, 10, v97
	v_mov_b32_e32 v14, 0
	s_mov_b32 s13, 0
	s_mov_b32 s40, exec_lo
                                        ; implicit-def: $vgpr15
                                        ; implicit-def: $vgpr17
                                        ; implicit-def: $vgpr8
	s_delay_alu instid0(VALU_DEP_2)
	v_cmpx_ne_u32_e64 v161, v16
	s_cbranch_execz .LBB4_620
; %bb.613:                              ;   in Loop: Header=BB4_495 Depth=2
	v_lshlrev_b32_e32 v8, 5, v96
	v_sub_nc_u32_e32 v10, v161, v16
	s_mov_b32 s41, exec_lo
	s_delay_alu instid0(VALU_DEP_2) | instskip(NEXT) | instid1(VALU_DEP_2)
	v_sub_nc_u32_e32 v8, v132, v8
	v_ashrrev_i32_e32 v11, 31, v10
	s_delay_alu instid0(VALU_DEP_2) | instskip(NEXT) | instid1(VALU_DEP_2)
	v_ashrrev_i32_e32 v9, 31, v8
	v_lshrrev_b32_e32 v11, 23, v11
	s_delay_alu instid0(VALU_DEP_2) | instskip(NEXT) | instid1(VALU_DEP_2)
	v_lshrrev_b32_e32 v9, 27, v9
	v_add_nc_u32_e32 v11, v10, v11
	s_delay_alu instid0(VALU_DEP_2) | instskip(NEXT) | instid1(VALU_DEP_2)
	v_add_nc_u32_e32 v9, v8, v9
	v_and_b32_e32 v18, 0xfffffe00, v11
	v_ashrrev_i32_e32 v11, 9, v11
	s_delay_alu instid0(VALU_DEP_3) | instskip(NEXT) | instid1(VALU_DEP_3)
	v_and_b32_e32 v12, 0xffffffe0, v9
	v_sub_nc_u32_e32 v20, v10, v18
	v_ashrrev_i32_e32 v9, 5, v9
	s_delay_alu instid0(VALU_DEP_3) | instskip(NEXT) | instid1(VALU_DEP_3)
	v_sub_nc_u32_e32 v19, v8, v12
	v_cmp_lt_i32_e32 vcc_lo, 15, v20
	s_delay_alu instid0(VALU_DEP_2) | instskip(SKIP_2) | instid1(VALU_DEP_2)
	v_lshlrev_b32_e32 v8, 4, v19
	s_wait_alu 0xfffd
	v_add_co_ci_u32_e64 v11, null, 0, v11, vcc_lo
	v_lshl_add_u32 v8, v9, 9, v8
	s_delay_alu instid0(VALU_DEP_2) | instskip(NEXT) | instid1(VALU_DEP_2)
	v_sub_nc_u32_e32 v21, v11, v9
	v_sub_nc_u32_e32 v14, v10, v8
	s_delay_alu instid0(VALU_DEP_1)
	v_cmpx_lt_i32_e32 15, v14
	s_cbranch_execz .LBB4_617
; %bb.614:                              ;   in Loop: Header=BB4_495 Depth=2
	s_trap 2
	ds_load_b64 v[10:11], v0
	v_add_nc_u32_e32 v12, v8, v16
	s_mov_b32 s42, 0
	s_delay_alu instid0(VALU_DEP_1) | instskip(SKIP_2) | instid1(VALU_DEP_2)
	v_ashrrev_i32_e32 v13, 31, v12
	v_add_co_u32 v8, s13, v12, v69
	s_wait_alu 0xf1fe
	v_add_co_ci_u32_e64 v9, null, v13, v70, s13
	s_wait_dscnt 0x0
	v_add_co_u32 v10, s13, v10, v12
	s_wait_alu 0xf1ff
	v_add_co_ci_u32_e64 v11, null, v11, v13, s13
	v_add_co_u32 v12, s13, v12, v80
	s_wait_alu 0xf1ff
	v_add_co_ci_u32_e64 v13, null, v13, v81, s13
.LBB4_615:                              ;   Parent Loop BB4_47 Depth=1
                                        ;     Parent Loop BB4_495 Depth=2
                                        ; =>    This Inner Loop Header: Depth=3
	global_load_b128 v[82:85], v[10:11], off th:TH_LOAD_NT
	global_load_b128 v[96:99], v[8:9], off th:TH_LOAD_NT
	v_mov_b32_e32 v177, 0
	v_mov_b32_e32 v179, 0
	v_dual_mov_b32 v15, 0 :: v_dual_mov_b32 v22, 0
	v_dual_mov_b32 v167, 0 :: v_dual_mov_b32 v178, 0
	v_dual_mov_b32 v17, 0 :: v_dual_mov_b32 v86, 0
	v_dual_mov_b32 v23, 0 :: v_dual_mov_b32 v162, 0
	v_dual_mov_b32 v87, 0 :: v_dual_mov_b32 v164, 0
	v_dual_mov_b32 v163, 0 :: v_dual_mov_b32 v166, 0
	v_dual_mov_b32 v165, 0 :: v_dual_mov_b32 v176, 0
	v_sub_nc_u32_e32 v14, v14, v117
	v_add_co_u32 v8, s13, v8, v117
	s_wait_alu 0xf1ff
	v_add_co_ci_u32_e64 v9, null, 0, v9, s13
	v_add_co_u32 v10, s13, v10, v117
	s_wait_alu 0xf1ff
	v_add_co_ci_u32_e64 v11, null, 0, v11, s13
	v_cmp_gt_i32_e64 s13, 16, v14
	v_sub_nc_u32_e32 v21, v21, v103
	s_or_b32 s42, s13, s42
	s_wait_loadcnt 0x1
	v_bfe_u32 v181, v82, 8, 8
	s_wait_loadcnt 0x0
	v_bfe_u32 v57, v96, 8, 8
	v_and_b32_e32 v180, 0xff, v82
	v_lshrrev_b32_e32 v182, 24, v82
	v_bfe_u32 v82, v82, 16, 8
	v_lshrrev_b32_e32 v58, 24, v96
	v_cvt_f32_bf8_e32 v181, v181
	v_cvt_f32_bf8_e32 v57, v57
	v_and_b32_e32 v56, 0xff, v96
	v_bfe_u32 v96, v96, 16, 8
	v_bfe_u32 v40, v83, 8, 8
	v_bfe_u32 v60, v97, 8, 8
	v_cvt_f32_bf8_e32 v180, v180
	v_cvt_f32_bf8_e32 v82, v82
	;; [unrolled: 1-line block ×5, first 2 shown]
	v_and_b32_e32 v59, 0xff, v97
	v_mul_f32_e32 v181, v181, v57
	v_cvt_f32_bf8_e32 v56, v56
	v_and_b32_e32 v183, 0xff, v83
	v_lshrrev_b32_e32 v41, 24, v83
	v_and_b32_e32 v42, 0xff, v84
	v_dual_mul_f32 v82, v82, v96 :: v_dual_and_b32 v45, 0xff, v85
	v_lshrrev_b32_e32 v61, 24, v97
	v_cvt_f32_bf8_e32 v40, v40
	v_cvt_f32_bf8_e32 v60, v60
	v_and_b32_e32 v62, 0xff, v98
	v_mul_f32_e32 v180, v180, v56
	v_cvt_f32_bf8_e32 v183, v183
	v_mul_f32_e32 v96, v182, v58
	v_cvt_f32_bf8_e32 v59, v59
	v_bfe_u32 v83, v83, 16, 8
	v_bfe_u32 v43, v84, 8, 8
	;; [unrolled: 1-line block ×6, first 2 shown]
	v_cvt_f32_bf8_e32 v41, v41
	v_cvt_f32_bf8_e32 v42, v42
	;; [unrolled: 1-line block ×3, first 2 shown]
	v_dual_mul_f32 v182, v183, v59 :: v_dual_mul_f32 v183, v40, v60
	v_cvt_f32_bf8_e32 v62, v62
	v_and_b32_e32 v73, 0xff, v99
	v_lshrrev_b32_e32 v44, 24, v84
	v_bfe_u32 v84, v84, 16, 8
	v_lshrrev_b32_e32 v72, 24, v98
	v_bfe_u32 v98, v98, 16, 8
	v_cvt_f32_bf8_e32 v83, v83
	v_cvt_f32_bf8_e32 v43, v43
	;; [unrolled: 1-line block ×7, first 2 shown]
	v_mul_f32_e32 v40, v42, v62
	v_cvt_f32_bf8_e32 v73, v73
	v_lshrrev_b32_e32 v47, 24, v85
	v_bfe_u32 v85, v85, 16, 8
	v_lshrrev_b32_e32 v75, 24, v99
	v_bfe_u32 v99, v99, 16, 8
	v_cvt_f32_bf8_e32 v84, v84
	v_cvt_f32_bf8_e32 v44, v44
	;; [unrolled: 1-line block ×4, first 2 shown]
	v_mul_f32_e32 v83, v83, v97
	v_mul_f32_e32 v97, v41, v61
	v_dual_mul_f32 v41, v43, v63 :: v_dual_mul_f32 v42, v45, v73
	v_mul_f32_e32 v43, v46, v74
	v_med3_num_f32 v46, v82, s89, 0xc7600000
	v_cmp_nlg_f32_e64 s15, 0x7f800000, |v82|
	v_cvt_f32_bf8_e32 v85, v85
	v_cvt_f32_bf8_e32 v99, v99
	v_mul_f32_e32 v84, v84, v98
	v_mul_f32_e32 v98, v44, v72
	s_wait_alu 0xf1ff
	v_cndmask_b32_e64 v82, v46, v82, s15
	v_cvt_f32_bf8_e32 v47, v47
	v_cvt_f32_bf8_e32 v75, v75
	v_med3_num_f32 v45, v181, s89, 0xc7600000
	v_med3_num_f32 v63, v98, s89, 0xc7600000
	v_cvt_pk_bf8_f32 v22, v82, v82
	v_mul_f32_e32 v85, v85, v99
	v_cmp_nlg_f32_e64 s24, 0x7f800000, |v98|
	v_cmp_nlg_f32_e64 s14, 0x7f800000, |v181|
	v_med3_num_f32 v57, v183, s89, 0xc7600000
	v_and_b32_e32 v22, 0xff, v22
	v_med3_num_f32 v74, v85, s89, 0xc7600000
	v_cmp_nlg_f32_e64 s27, 0x7f800000, |v85|
	v_cmp_nlg_f32_e64 s18, 0x7f800000, |v183|
	v_med3_num_f32 v58, v83, s89, 0xc7600000
	v_cmp_nlg_f32_e64 s19, 0x7f800000, |v83|
	v_med3_num_f32 v61, v41, s89, 0xc7600000
	s_wait_alu 0xf1ff
	v_cndmask_b32_e64 v85, v74, v85, s27
	v_cmp_nlg_f32_e64 s22, 0x7f800000, |v41|
	v_med3_num_f32 v62, v84, s89, 0xc7600000
	v_cmp_nlg_f32_e64 s23, 0x7f800000, |v84|
	v_med3_num_f32 v73, v43, s89, 0xc7600000
	v_cmp_nlg_f32_e64 s26, 0x7f800000, |v43|
	v_cndmask_b32_e64 v98, v63, v98, s24
	v_cvt_pk_bf8_f32 v178, v85, v85
	v_mul_f32_e32 v99, v47, v75
	v_med3_num_f32 v44, v180, s89, 0xc7600000
	v_med3_num_f32 v47, v96, s89, 0xc7600000
	v_cmp_nlg_f32_e64 s16, 0x7f800000, |v96|
	v_med3_num_f32 v56, v182, s89, 0xc7600000
	v_cmp_nlg_f32_e64 s17, 0x7f800000, |v182|
	;; [unrolled: 2-line block ×5, first 2 shown]
	v_cmp_nlg_f32_e64 s29, 0x7f800000, |v180|
	v_cndmask_b32_e64 v181, v45, v181, s14
	v_cndmask_b32_e64 v183, v57, v183, s18
	;; [unrolled: 1-line block ×3, first 2 shown]
	s_wait_alu 0xf1ff
	v_cndmask_b32_e64 v41, v61, v41, s22
	v_cndmask_b32_e64 v84, v62, v84, s23
	;; [unrolled: 1-line block ×3, first 2 shown]
	v_cvt_pk_bf8_f32 v167, v98, v98
	v_and_b32_e32 v98, 0xff, v178
	v_med3_num_f32 v75, v99, s89, 0xc7600000
	v_cmp_nlg_f32_e64 s28, 0x7f800000, |v99|
	v_cndmask_b32_e64 v180, v44, v180, s29
	v_cndmask_b32_e64 v96, v47, v96, s16
	;; [unrolled: 1-line block ×6, first 2 shown]
	s_wait_alu 0xf1ff
	v_cndmask_b32_e64 v99, v75, v99, s28
	v_cvt_pk_bf8_f32 v17, v181, v181
	v_cvt_pk_bf8_f32 v87, v183, v183
	;; [unrolled: 1-line block ×13, first 2 shown]
	v_lshlrev_b32_e32 v17, 8, v17
	v_lshlrev_b32_e32 v82, 8, v87
	v_and_b32_e32 v83, 0xff, v162
	v_lshlrev_b32_e32 v85, 8, v165
	v_and_b32_e32 v87, 0xff, v166
	v_lshlrev_b32_e32 v97, 8, v177
	v_lshlrev_b32_e32 v23, 24, v23
	;; [unrolled: 1-line block ×6, first 2 shown]
	v_perm_b32 v15, v17, v15, 0xc0c0500
	v_lshlrev_b32_e32 v17, 16, v83
	v_perm_b32 v83, v82, v86, 0xc0c0500
	v_lshlrev_b32_e32 v86, 16, v87
	v_perm_b32 v85, v85, v164, 0xc0c0500
	v_lshlrev_b32_e32 v87, 16, v98
	v_perm_b32 v97, v97, v176, 0xc0c0500
	v_or3_b32 v82, v23, v22, v15
	v_or3_b32 v83, v84, v17, v83
	;; [unrolled: 1-line block ×3, first 2 shown]
	s_delay_alu instid0(VALU_DEP_4)
	v_or3_b32 v85, v99, v87, v97
	global_store_b128 v[12:13], v[82:85], off th:TH_STORE_NT
	v_add_co_u32 v12, s14, v12, v117
	s_wait_alu 0xf1ff
	v_add_co_ci_u32_e64 v13, null, 0, v13, s14
	s_wait_alu 0xfffe
	s_and_not1_b32 exec_lo, exec_lo, s42
	s_cbranch_execnz .LBB4_615
; %bb.616:                              ;   in Loop: Header=BB4_495 Depth=2
	s_or_b32 exec_lo, exec_lo, s42
.LBB4_617:                              ;   in Loop: Header=BB4_495 Depth=2
	s_wait_alu 0xfffe
	s_or_b32 exec_lo, exec_lo, s41
	v_dual_mov_b32 v14, 0 :: v_dual_and_b32 v9, 15, v161
	s_mov_b32 s14, 0
	s_mov_b32 s15, exec_lo
                                        ; implicit-def: $vgpr17
                                        ; implicit-def: $vgpr8
	s_delay_alu instid0(VALU_DEP_1) | instskip(NEXT) | instid1(VALU_DEP_1)
	v_cndmask_b32_e32 v15, v20, v9, vcc_lo
	v_cmpx_ne_u32_e32 0, v15
	s_cbranch_execz .LBB4_619
; %bb.618:                              ;   in Loop: Header=BB4_495 Depth=2
	v_cmp_lt_i32_e64 s13, 0, v21
	v_sub_nc_u32_e32 v9, v20, v9
	s_mov_b32 s14, exec_lo
	s_wait_alu 0xf1ff
	v_cndmask_b32_e64 v8, 0, v103, s13
	s_delay_alu instid0(VALU_DEP_1) | instskip(NEXT) | instid1(VALU_DEP_1)
	v_sub_nc_u32_e32 v8, v8, v21
	v_lshl_add_u32 v17, v8, 5, v19
	s_delay_alu instid0(VALU_DEP_1) | instskip(NEXT) | instid1(VALU_DEP_1)
	v_ashrrev_i32_e32 v8, 31, v17
	v_lshrrev_b32_e32 v8, 27, v8
	s_delay_alu instid0(VALU_DEP_1) | instskip(NEXT) | instid1(VALU_DEP_1)
	v_dual_cndmask_b32 v9, 0, v9 :: v_dual_add_nc_u32 v8, v17, v8
	v_add3_u32 v14, v18, v16, v9
	s_delay_alu instid0(VALU_DEP_2)
	v_ashrrev_i32_e32 v8, 5, v8
.LBB4_619:                              ;   in Loop: Header=BB4_495 Depth=2
	s_wait_alu 0xfffe
	s_or_b32 exec_lo, exec_lo, s15
	s_delay_alu instid0(SALU_CYCLE_1)
	s_and_b32 s13, s14, exec_lo
.LBB4_620:                              ;   in Loop: Header=BB4_495 Depth=2
	s_wait_alu 0xfffe
	s_or_b32 exec_lo, exec_lo, s40
	s_and_saveexec_b32 s29, s13
	s_cbranch_execz .LBB4_629
.LBB4_621:                              ;   in Loop: Header=BB4_495 Depth=2
	v_ashrrev_i32_e32 v9, 31, v15
	s_mov_b32 s40, exec_lo
	s_delay_alu instid0(VALU_DEP_1) | instskip(NEXT) | instid1(VALU_DEP_1)
	v_lshrrev_b32_e32 v9, 23, v9
	v_add_nc_u32_e32 v9, v15, v9
	s_delay_alu instid0(VALU_DEP_1) | instskip(NEXT) | instid1(VALU_DEP_1)
	v_ashrrev_i32_e32 v18, 9, v9
	v_sub_nc_u32_e32 v16, v18, v8
	s_delay_alu instid0(VALU_DEP_1)
	v_cmpx_lt_i32_e32 0, v16
	s_cbranch_execz .LBB4_625
; %bb.622:                              ;   in Loop: Header=BB4_495 Depth=2
	v_ashrrev_i32_e32 v9, 31, v17
	s_trap 2
	ds_load_b64 v[10:11], v0
	v_lshlrev_b32_e32 v8, 9, v8
	v_add_co_u32 v19, vcc_lo, 0x1e0, v80
	v_lshrrev_b32_e32 v9, 27, v9
	s_wait_alu 0xfffd
	v_add_co_ci_u32_e64 v20, null, 0, v81, vcc_lo
	s_mov_b32 s41, 0
	v_add_nc_u32_e32 v9, v17, v9
	s_delay_alu instid0(VALU_DEP_1) | instskip(NEXT) | instid1(VALU_DEP_1)
	v_and_b32_e32 v9, 0xffffffe0, v9
	v_sub_nc_u32_e32 v9, v17, v9
	s_delay_alu instid0(VALU_DEP_1) | instskip(NEXT) | instid1(VALU_DEP_1)
	v_add3_u32 v12, v14, v9, v8
	v_ashrrev_i32_e32 v13, 31, v12
	v_add_co_u32 v8, vcc_lo, v12, v69
	s_wait_alu 0xfffd
	s_delay_alu instid0(VALU_DEP_2)
	v_add_co_ci_u32_e64 v9, null, v13, v70, vcc_lo
	s_wait_dscnt 0x0
	v_add_co_u32 v10, vcc_lo, v10, v12
	s_wait_alu 0xfffd
	v_add_co_ci_u32_e64 v11, null, v11, v13, vcc_lo
	v_add_co_u32 v12, vcc_lo, v19, v12
	s_wait_alu 0xfffd
	v_add_co_ci_u32_e64 v13, null, v20, v13, vcc_lo
.LBB4_623:                              ;   Parent Loop BB4_47 Depth=1
                                        ;     Parent Loop BB4_495 Depth=2
                                        ; =>    This Inner Loop Header: Depth=3
	flat_load_u8 v19, v[8:9] th:TH_LOAD_NT
	flat_load_u8 v20, v[10:11] th:TH_LOAD_NT
	flat_load_u8 v21, v[8:9] offset:32 th:TH_LOAD_NT
	flat_load_u8 v22, v[10:11] offset:32 th:TH_LOAD_NT
	;; [unrolled: 1-line block ×30, first 2 shown]
	v_dual_mov_b32 v183, 0 :: v_dual_mov_b32 v40, 0
	v_dual_mov_b32 v41, 0 :: v_dual_mov_b32 v42, 0
	;; [unrolled: 1-line block ×8, first 2 shown]
	v_sub_nc_u32_e32 v16, v16, v103
	v_add_co_u32 v8, vcc_lo, v8, v117
	s_wait_alu 0xfffd
	v_add_co_ci_u32_e64 v9, null, 0, v9, vcc_lo
	v_add_co_u32 v10, vcc_lo, v10, v117
	s_wait_alu 0xfffd
	v_add_co_ci_u32_e64 v11, null, 0, v11, vcc_lo
	v_cmp_gt_i32_e32 vcc_lo, 1, v16
	s_wait_alu 0xfffe
	s_or_b32 s41, vcc_lo, s41
	s_wait_loadcnt_dscnt 0x1f1f
	v_cvt_f32_bf8_e32 v19, v19
	s_wait_loadcnt_dscnt 0x1e1e
	v_cvt_f32_bf8_e32 v20, v20
	;; [unrolled: 2-line block ×32, first 2 shown]
	v_dual_mul_f32 v19, v19, v20 :: v_dual_mul_f32 v20, v21, v22
	v_dual_mul_f32 v21, v23, v69 :: v_dual_mul_f32 v22, v70, v80
	;; [unrolled: 1-line block ×4, first 2 shown]
	v_mul_f32_e32 v81, v97, v98
	v_mul_f32_e32 v82, v99, v162
	v_dual_mul_f32 v83, v163, v164 :: v_dual_mul_f32 v84, v165, v166
	v_dual_mul_f32 v85, v167, v176 :: v_dual_mul_f32 v86, v177, v178
	;; [unrolled: 1-line block ×3, first 2 shown]
	v_med3_num_f32 v97, v19, s89, 0xc7600000
	v_cmp_nlg_f32_e64 s28, 0x7f800000, |v19|
	v_med3_num_f32 v98, v20, s89, 0xc7600000
	v_cmp_nlg_f32_e64 s13, 0x7f800000, |v20|
	;; [unrolled: 2-line block ×16, first 2 shown]
	s_wait_alu 0xf1ff
	v_cndmask_b32_e64 v19, v97, v19, s28
	v_cndmask_b32_e64 v20, v98, v20, s13
	;; [unrolled: 1-line block ×16, first 2 shown]
	v_cvt_pk_bf8_f32 v183, v19, v19
	v_cvt_pk_bf8_f32 v40, v20, v20
	;; [unrolled: 1-line block ×16, first 2 shown]
	s_clause 0xf
	flat_store_b8 v[12:13], v183 offset:-480 th:TH_STORE_NT
	flat_store_b8 v[12:13], v40 offset:-448 th:TH_STORE_NT
	;; [unrolled: 1-line block ×15, first 2 shown]
	flat_store_b8 v[12:13], v62 th:TH_STORE_NT
	v_add_co_u32 v12, s13, v12, v117
	s_wait_alu 0xf1ff
	v_add_co_ci_u32_e64 v13, null, 0, v13, s13
	s_wait_alu 0xfffe
	s_and_not1_b32 exec_lo, exec_lo, s41
	s_cbranch_execnz .LBB4_623
; %bb.624:                              ;   in Loop: Header=BB4_495 Depth=2
	s_or_b32 exec_lo, exec_lo, s41
.LBB4_625:                              ;   in Loop: Header=BB4_495 Depth=2
	s_wait_alu 0xfffe
	s_or_b32 exec_lo, exec_lo, s40
	v_lshlrev_b32_e32 v8, 9, v18
	s_delay_alu instid0(VALU_DEP_1)
	v_cmp_ne_u32_e32 vcc_lo, v15, v8
	s_and_b32 exec_lo, exec_lo, vcc_lo
	s_cbranch_execz .LBB4_629
; %bb.626:                              ;   in Loop: Header=BB4_495 Depth=2
	v_ashrrev_i32_e32 v9, 31, v17
	v_lshlrev_b32_e32 v10, 5, v16
	s_delay_alu instid0(VALU_DEP_2) | instskip(NEXT) | instid1(VALU_DEP_1)
	v_lshrrev_b32_e32 v9, 27, v9
	v_add_nc_u32_e32 v9, v17, v9
	s_delay_alu instid0(VALU_DEP_1) | instskip(NEXT) | instid1(VALU_DEP_1)
	v_and_b32_e32 v9, 0xffffffe0, v9
	v_sub_nc_u32_e32 v9, v17, v9
	s_delay_alu instid0(VALU_DEP_1) | instskip(NEXT) | instid1(VALU_DEP_1)
	v_sub_nc_u32_e32 v9, v9, v10
	v_add_nc_u32_e32 v8, v8, v9
	s_delay_alu instid0(VALU_DEP_1) | instskip(NEXT) | instid1(VALU_DEP_1)
	v_sub_nc_u32_e32 v15, v15, v8
	v_cmp_lt_i32_e32 vcc_lo, 0, v15
	s_and_b32 exec_lo, exec_lo, vcc_lo
	s_cbranch_execz .LBB4_629
; %bb.627:                              ;   in Loop: Header=BB4_495 Depth=2
	s_trap 2
	ds_load_b128 v[9:12], v0
	ds_load_b64 v[16:17], v0
	v_add_nc_u32_e32 v13, v8, v14
	s_mov_b32 s14, 0
	s_delay_alu instid0(VALU_DEP_1) | instskip(SKIP_3) | instid1(VALU_DEP_2)
	v_ashrrev_i32_e32 v14, 31, v13
	s_wait_dscnt 0x1
	v_add_co_u32 v8, vcc_lo, v9, v13
	s_wait_alu 0xfffd
	v_add_co_ci_u32_e64 v9, null, v10, v14, vcc_lo
	v_add_co_u32 v10, vcc_lo, v11, v13
	s_wait_alu 0xfffd
	v_add_co_ci_u32_e64 v11, null, v12, v14, vcc_lo
	s_wait_dscnt 0x0
	v_add_co_u32 v12, vcc_lo, v16, v13
	s_wait_alu 0xfffd
	v_add_co_ci_u32_e64 v13, null, v17, v14, vcc_lo
.LBB4_628:                              ;   Parent Loop BB4_47 Depth=1
                                        ;     Parent Loop BB4_495 Depth=2
                                        ; =>    This Inner Loop Header: Depth=3
	flat_load_u8 v14, v[10:11] th:TH_LOAD_NT
	flat_load_u8 v16, v[8:9] th:TH_LOAD_NT
	v_sub_nc_u32_e32 v15, v15, v112
	v_add_co_u32 v8, vcc_lo, v8, v112
	s_wait_alu 0xfffd
	v_add_co_ci_u32_e64 v9, null, 0, v9, vcc_lo
	v_add_co_u32 v10, vcc_lo, v10, v112
	s_wait_alu 0xfffd
	v_add_co_ci_u32_e64 v11, null, 0, v11, vcc_lo
	v_cmp_gt_i32_e32 vcc_lo, 1, v15
	s_wait_alu 0xfffe
	s_or_b32 s14, vcc_lo, s14
	s_wait_loadcnt_dscnt 0x101
	v_cvt_f32_bf8_e32 v14, v14
	s_wait_loadcnt_dscnt 0x0
	v_cvt_f32_bf8_e32 v16, v16
	s_delay_alu instid0(VALU_DEP_1) | instskip(NEXT) | instid1(VALU_DEP_1)
	v_dual_mov_b32 v17, 0 :: v_dual_mul_f32 v14, v14, v16
	v_med3_num_f32 v16, v14, s89, 0xc7600000
	v_cmp_nlg_f32_e64 s13, 0x7f800000, |v14|
	s_wait_alu 0xf1ff
	s_delay_alu instid0(VALU_DEP_1) | instskip(NEXT) | instid1(VALU_DEP_1)
	v_cndmask_b32_e64 v14, v16, v14, s13
	v_cvt_pk_bf8_f32 v17, v14, v14
	flat_store_b8 v[12:13], v17 th:TH_STORE_NT
	v_add_co_u32 v12, s13, v12, v112
	s_wait_alu 0xf1ff
	v_add_co_ci_u32_e64 v13, null, 0, v13, s13
	s_wait_alu 0xfffe
	s_and_not1_b32 exec_lo, exec_lo, s14
	s_cbranch_execnz .LBB4_628
.LBB4_629:                              ;   in Loop: Header=BB4_495 Depth=2
	s_wait_alu 0xfffe
	s_or_b32 exec_lo, exec_lo, s29
.LBB4_630:                              ;   in Loop: Header=BB4_495 Depth=2
	v_cmp_lt_i32_e64 s13, 0, v161
	s_and_saveexec_b32 s14, s2
	s_cbranch_execz .LBB4_571
.LBB4_631:                              ;   in Loop: Header=BB4_495 Depth=2
	s_and_saveexec_b32 s15, s3
	s_wait_alu 0xfffe
	s_xor_b32 s15, exec_lo, s15
	s_cbranch_execz .LBB4_646
; %bb.632:                              ;   in Loop: Header=BB4_495 Depth=2
	s_and_saveexec_b32 s16, s6
	s_cbranch_execz .LBB4_645
; %bb.633:                              ;   in Loop: Header=BB4_495 Depth=2
	s_mov_b32 s18, exec_lo
	s_mov_b32 s17, exec_lo
	s_wait_alu 0xfffe
	v_mbcnt_lo_u32_b32 v8, s18, 0
	s_wait_storecnt 0x0
	s_wait_loadcnt_dscnt 0x0
	global_inv scope:SCOPE_DEV
	v_cmpx_eq_u32_e32 0, v8
	s_cbranch_execz .LBB4_635
; %bb.634:                              ;   in Loop: Header=BB4_495 Depth=2
	s_bcnt1_i32_b32 s18, s18
	s_wait_alu 0xfffe
	v_dual_mov_b32 v9, v2 :: v_dual_mov_b32 v8, s18
	s_wait_loadcnt 0x0
	ds_add_u64 v0, v[8:9]
	s_trap 2
.LBB4_635:                              ;   in Loop: Header=BB4_495 Depth=2
	s_or_b32 exec_lo, exec_lo, s17
	s_trap 2
	ds_load_b64 v[8:9], v0
	s_wait_dscnt 0x0
	global_inv scope:SCOPE_SE
	v_add_co_u32 v38, vcc_lo, v38, v103
	s_wait_alu 0xfffd
	v_add_co_ci_u32_e64 v39, null, 0, v39, vcc_lo
	s_mov_b32 s17, exec_lo
	v_cmpx_lt_u64_e64 v[8:9], v[38:39]
	s_cbranch_execz .LBB4_644
; %bb.636:                              ;   in Loop: Header=BB4_495 Depth=2
	s_mov_b32 s18, 0
	s_mov_b32 s21, 0
                                        ; implicit-def: $sgpr19
                                        ; implicit-def: $sgpr20
	s_branch .LBB4_638
.LBB4_637:                              ;   in Loop: Header=BB4_638 Depth=3
	s_wait_alu 0xfffe
	s_or_b32 exec_lo, exec_lo, s23
	s_delay_alu instid0(SALU_CYCLE_1)
	s_and_b32 s22, exec_lo, s24
	s_wait_alu 0xfffe
	s_or_b32 s18, s22, s18
	s_and_not1_b32 s19, s19, exec_lo
	s_and_b32 s22, s20, exec_lo
	s_wait_alu 0xfffe
	s_or_b32 s19, s19, s22
	s_and_not1_b32 exec_lo, exec_lo, s18
	s_cbranch_execz .LBB4_642
.LBB4_638:                              ;   Parent Loop BB4_47 Depth=1
                                        ;     Parent Loop BB4_495 Depth=2
                                        ; =>    This Inner Loop Header: Depth=3
	s_wait_alu 0xfffe
	s_add_co_i32 s21, s21, 1
	s_wait_alu 0xfffe
	s_cmp_lg_u32 s21, 0x2710
	s_cselect_b32 s22, -1, 0
	s_wait_alu 0xfffe
	s_and_b32 vcc_lo, exec_lo, s22
	s_wait_alu 0xfffe
	s_cbranch_vccz .LBB4_640
; %bb.639:                              ;   in Loop: Header=BB4_638 Depth=3
	s_mov_b32 s24, -1
	s_or_b32 s20, s20, exec_lo
	s_and_saveexec_b32 s23, s22
	s_cbranch_execz .LBB4_637
	s_branch .LBB4_641
.LBB4_640:                              ;   in Loop: Header=BB4_638 Depth=3
	s_trap 2
	ds_load_b64 v[8:9], v0
	s_and_not1_b32 s22, s22, exec_lo
	s_mov_b32 s21, 0
	s_wait_loadcnt_dscnt 0x0
	flat_load_b32 v8, v[8:9] scope:SCOPE_SYS
	s_wait_loadcnt_dscnt 0x0
	global_inv scope:SCOPE_SYS
	v_cmp_eq_u32_e32 vcc_lo, 0, v8
	s_and_b32 s23, vcc_lo, exec_lo
	s_wait_alu 0xfffe
	s_or_b32 s22, s22, s23
	s_mov_b32 s24, -1
	s_or_b32 s20, s20, exec_lo
	s_wait_alu 0xfffe
	s_and_saveexec_b32 s23, s22
	s_cbranch_execz .LBB4_637
.LBB4_641:                              ;   in Loop: Header=BB4_638 Depth=3
	s_sleep 1
	s_trap 2
	ds_load_b64 v[8:9], v0
	s_wait_dscnt 0x0
	global_inv scope:SCOPE_SE
	s_wait_alu 0xfffe
	s_and_not1_b32 s20, s20, exec_lo
	v_cmp_ge_u64_e32 vcc_lo, v[8:9], v[38:39]
	s_or_not1_b32 s24, vcc_lo, exec_lo
	s_branch .LBB4_637
.LBB4_642:                              ;   in Loop: Header=BB4_495 Depth=2
	s_or_b32 exec_lo, exec_lo, s18
	s_wait_alu 0xfffe
	s_and_saveexec_b32 s18, s19
	s_wait_alu 0xfffe
	s_xor_b32 s18, exec_lo, s18
	s_cbranch_execz .LBB4_644
; %bb.643:                              ;   in Loop: Header=BB4_495 Depth=2
	ds_store_b32 v0, v113
	s_trap 2
.LBB4_644:                              ;   in Loop: Header=BB4_495 Depth=2
	s_wait_alu 0xfffe
	s_or_b32 exec_lo, exec_lo, s17
	;;#ASMSTART
	s_wakeup
	;;#ASMEND
.LBB4_645:                              ;   in Loop: Header=BB4_495 Depth=2
	s_wait_alu 0xfffe
	s_or_b32 exec_lo, exec_lo, s16
.LBB4_646:                              ;   in Loop: Header=BB4_495 Depth=2
	s_wait_alu 0xfffe
	s_and_not1_saveexec_b32 s15, s15
	s_cbranch_execz .LBB4_648
; %bb.647:                              ;   in Loop: Header=BB4_495 Depth=2
	s_wait_storecnt 0x0
	s_wait_loadcnt_dscnt 0x0
	global_inv scope:SCOPE_DEV
	s_barrier_signal -1
	s_barrier_wait -1
.LBB4_648:                              ;   in Loop: Header=BB4_495 Depth=2
	s_wait_alu 0xfffe
	s_or_b32 exec_lo, exec_lo, s15
	s_delay_alu instid0(SALU_CYCLE_1)
	s_or_b32 exec_lo, exec_lo, s14
                                        ; implicit-def: $vgpr8
	s_and_saveexec_b32 s14, s10
	s_wait_alu 0xfffe
	s_xor_b32 s14, exec_lo, s14
	s_cbranch_execnz .LBB4_572
.LBB4_649:                              ;   in Loop: Header=BB4_495 Depth=2
	s_wait_alu 0xfffe
	s_and_not1_saveexec_b32 s13, s14
	s_cbranch_execz .LBB4_668
.LBB4_650:                              ;   in Loop: Header=BB4_495 Depth=2
	s_and_saveexec_b32 s14, s3
	s_wait_alu 0xfffe
	s_xor_b32 s14, exec_lo, s14
	s_cbranch_execz .LBB4_665
; %bb.651:                              ;   in Loop: Header=BB4_495 Depth=2
	s_and_saveexec_b32 s15, s6
	s_cbranch_execz .LBB4_664
; %bb.652:                              ;   in Loop: Header=BB4_495 Depth=2
	s_mov_b32 s17, exec_lo
	s_mov_b32 s16, exec_lo
	s_wait_alu 0xfffe
	v_mbcnt_lo_u32_b32 v8, s17, 0
	;;#ASMSTART
	s_waitcnt lgkmcnt(0) vmcnt(0)
	;;#ASMEND
	s_delay_alu instid0(VALU_DEP_1)
	v_cmpx_eq_u32_e32 0, v8
	s_cbranch_execz .LBB4_654
; %bb.653:                              ;   in Loop: Header=BB4_495 Depth=2
	s_bcnt1_i32_b32 s17, s17
	s_wait_alu 0xfffe
	v_dual_mov_b32 v9, v2 :: v_dual_mov_b32 v8, s17
	s_wait_storecnt 0x0
	s_wait_loadcnt_dscnt 0x0
	ds_add_u64 v0, v[8:9]
	s_trap 2
.LBB4_654:                              ;   in Loop: Header=BB4_495 Depth=2
	s_or_b32 exec_lo, exec_lo, s16
	s_trap 2
	ds_load_b64 v[8:9], v0
	s_wait_dscnt 0x0
	global_inv scope:SCOPE_SE
	v_add_co_u32 v38, vcc_lo, v38, v103
	s_wait_alu 0xfffd
	v_add_co_ci_u32_e64 v39, null, 0, v39, vcc_lo
	s_mov_b32 s16, exec_lo
	v_cmpx_lt_u64_e64 v[8:9], v[38:39]
	s_cbranch_execz .LBB4_663
; %bb.655:                              ;   in Loop: Header=BB4_495 Depth=2
	s_mov_b32 s17, 0
	s_mov_b32 s20, 0
                                        ; implicit-def: $sgpr18
                                        ; implicit-def: $sgpr19
	s_branch .LBB4_657
.LBB4_656:                              ;   in Loop: Header=BB4_657 Depth=3
	s_wait_alu 0xfffe
	s_or_b32 exec_lo, exec_lo, s22
	s_delay_alu instid0(SALU_CYCLE_1)
	s_and_b32 s21, exec_lo, s23
	s_wait_alu 0xfffe
	s_or_b32 s17, s21, s17
	s_and_not1_b32 s18, s18, exec_lo
	s_and_b32 s21, s19, exec_lo
	s_wait_alu 0xfffe
	s_or_b32 s18, s18, s21
	s_and_not1_b32 exec_lo, exec_lo, s17
	s_cbranch_execz .LBB4_661
.LBB4_657:                              ;   Parent Loop BB4_47 Depth=1
                                        ;     Parent Loop BB4_495 Depth=2
                                        ; =>    This Inner Loop Header: Depth=3
	s_wait_alu 0xfffe
	s_add_co_i32 s20, s20, 1
	s_wait_alu 0xfffe
	s_cmp_lg_u32 s20, 0x2710
	s_cselect_b32 s21, -1, 0
	s_wait_alu 0xfffe
	s_and_b32 vcc_lo, exec_lo, s21
	s_wait_alu 0xfffe
	s_cbranch_vccz .LBB4_659
; %bb.658:                              ;   in Loop: Header=BB4_657 Depth=3
	s_mov_b32 s23, -1
	s_or_b32 s19, s19, exec_lo
	s_and_saveexec_b32 s22, s21
	s_cbranch_execz .LBB4_656
	s_branch .LBB4_660
.LBB4_659:                              ;   in Loop: Header=BB4_657 Depth=3
	s_trap 2
	ds_load_b64 v[8:9], v0
	s_and_not1_b32 s21, s21, exec_lo
	s_mov_b32 s20, 0
	s_wait_storecnt 0x0
	s_wait_loadcnt_dscnt 0x0
	flat_load_b32 v8, v[8:9] scope:SCOPE_SYS
	s_wait_loadcnt_dscnt 0x0
	global_inv scope:SCOPE_SYS
	v_cmp_eq_u32_e32 vcc_lo, 0, v8
	s_and_b32 s22, vcc_lo, exec_lo
	s_wait_alu 0xfffe
	s_or_b32 s21, s21, s22
	s_mov_b32 s23, -1
	s_or_b32 s19, s19, exec_lo
	s_wait_alu 0xfffe
	s_and_saveexec_b32 s22, s21
	s_cbranch_execz .LBB4_656
.LBB4_660:                              ;   in Loop: Header=BB4_657 Depth=3
	s_sleep 1
	s_trap 2
	ds_load_b64 v[8:9], v0
	s_wait_dscnt 0x0
	global_inv scope:SCOPE_SE
	s_wait_alu 0xfffe
	s_and_not1_b32 s19, s19, exec_lo
	v_cmp_ge_u64_e32 vcc_lo, v[8:9], v[38:39]
	s_or_not1_b32 s23, vcc_lo, exec_lo
	s_branch .LBB4_656
.LBB4_661:                              ;   in Loop: Header=BB4_495 Depth=2
	s_or_b32 exec_lo, exec_lo, s17
	s_wait_alu 0xfffe
	s_and_saveexec_b32 s17, s18
	s_wait_alu 0xfffe
	s_xor_b32 s17, exec_lo, s17
	s_cbranch_execz .LBB4_663
; %bb.662:                              ;   in Loop: Header=BB4_495 Depth=2
	ds_store_b32 v0, v113
	s_trap 2
.LBB4_663:                              ;   in Loop: Header=BB4_495 Depth=2
	s_wait_alu 0xfffe
	s_or_b32 exec_lo, exec_lo, s16
	;;#ASMSTART
	s_wakeup
	;;#ASMEND
.LBB4_664:                              ;   in Loop: Header=BB4_495 Depth=2
	s_wait_alu 0xfffe
	s_or_b32 exec_lo, exec_lo, s15
.LBB4_665:                              ;   in Loop: Header=BB4_495 Depth=2
	s_wait_alu 0xfffe
	s_and_not1_saveexec_b32 s14, s14
	s_cbranch_execz .LBB4_667
; %bb.666:                              ;   in Loop: Header=BB4_495 Depth=2
	;;#ASMSTART
	s_waitcnt lgkmcnt(0) vmcnt(0)
	;;#ASMEND
	s_barrier_signal -1
	s_barrier_wait -1
.LBB4_667:                              ;   in Loop: Header=BB4_495 Depth=2
	s_wait_alu 0xfffe
	s_or_b32 exec_lo, exec_lo, s14
	v_and_b32_e32 v8, 16, v30
.LBB4_668:                              ;   in Loop: Header=BB4_495 Depth=2
	s_wait_alu 0xfffe
	s_or_b32 exec_lo, exec_lo, s13
	s_delay_alu instid0(VALU_DEP_1)
	v_cmp_ne_u32_e32 vcc_lo, 0, v8
	s_xor_b32 s13, s4, -1
	s_wait_alu 0xfffe
	s_and_b32 s14, vcc_lo, s13
	s_wait_alu 0xfffe
	s_and_saveexec_b32 s13, s14
	s_cbranch_execz .LBB4_670
; %bb.669:                              ;   in Loop: Header=BB4_495 Depth=2
	global_wb scope:SCOPE_SYS
	s_wait_storecnt 0x0
	s_wait_loadcnt_dscnt 0x0
	flat_store_b32 v[36:37], v113 scope:SCOPE_SYS
.LBB4_670:                              ;   in Loop: Header=BB4_495 Depth=2
	s_wait_alu 0xfffe
	s_or_b32 exec_lo, exec_lo, s13
	v_and_b32_e32 v8, 48, v30
	s_mov_b32 s13, exec_lo
	s_delay_alu instid0(VALU_DEP_1)
	v_cmpx_ne_u32_e32 0, v8
	s_cbranch_execz .LBB4_494
; %bb.671:                              ;   in Loop: Header=BB4_495 Depth=2
	v_add_co_u32 v64, vcc_lo, v64, 2
	s_wait_alu 0xfffd
	v_add_co_ci_u32_e64 v65, null, 0, v65, vcc_lo
	global_wb scope:SCOPE_SYS
	s_wait_storecnt 0x0
	s_wait_loadcnt_dscnt 0x0
	flat_store_b64 v[32:33], v[64:65] scope:SCOPE_SYS
	s_branch .LBB4_494
.LBB4_672:                              ;   in Loop: Header=BB4_47 Depth=1
	s_or_b32 exec_lo, exec_lo, s36
.LBB4_673:                              ;   in Loop: Header=BB4_47 Depth=1
	s_wait_alu 0xfffe
	s_or_b32 exec_lo, exec_lo, s77
	s_delay_alu instid0(SALU_CYCLE_1)
	s_mov_b32 s14, exec_lo
	v_cmpx_gt_i32_e32 2, v10
	s_cbranch_execz .LBB4_749
; %bb.674:                              ;   in Loop: Header=BB4_47 Depth=1
	v_cmp_eq_u32_e64 s16, 0, v10
	s_mov_b32 s15, 0
	s_branch .LBB4_676
.LBB4_675:                              ;   in Loop: Header=BB4_676 Depth=2
	s_wait_alu 0xfffe
	s_or_b32 exec_lo, exec_lo, s13
	v_add_nc_u32_e32 v71, v68, v71
	s_mov_b32 s16, 0
	s_and_not1_b32 exec_lo, exec_lo, s15
	s_cbranch_execz .LBB4_748
.LBB4_676:                              ;   Parent Loop BB4_47 Depth=1
                                        ; =>  This Loop Header: Depth=2
                                        ;       Child Loop BB4_682 Depth 3
                                        ;       Child Loop BB4_710 Depth 3
	;; [unrolled: 1-line block ×3, first 2 shown]
	s_delay_alu instid0(VALU_DEP_1) | instskip(SKIP_2) | instid1(VALU_DEP_2)
	v_sub_nc_u32_e32 v8, v3, v71
	v_and_b32_e32 v9, 12, v30
	s_mov_b32 s17, exec_lo
	v_min_i32_e32 v68, v68, v8
	s_delay_alu instid0(VALU_DEP_2)
	v_cmpx_ne_u32_e32 0, v9
	s_cbranch_execz .LBB4_702
; %bb.677:                              ;   in Loop: Header=BB4_676 Depth=2
	v_and_b32_e32 v16, 8, v30
	s_mov_b32 s18, exec_lo
	s_delay_alu instid0(VALU_DEP_1)
	v_add_co_u32 v10, vcc_lo, v48, v16
	s_wait_alu 0xfffd
	v_add_co_ci_u32_e64 v11, null, 0, v49, vcc_lo
	v_add_co_u32 v8, vcc_lo, v64, 2
	s_wait_alu 0xfffd
	v_add_co_ci_u32_e64 v9, null, 0, v65, vcc_lo
	s_delay_alu instid0(VALU_DEP_1)
	v_cmpx_lt_u64_e64 v[10:11], v[8:9]
	s_cbranch_execz .LBB4_689
; %bb.678:                              ;   in Loop: Header=BB4_676 Depth=2
	v_and_b32_e32 v10, 64, v30
	s_mov_b32 s19, 0
	s_mov_b32 s23, 0
                                        ; implicit-def: $sgpr20
                                        ; implicit-def: $sgpr21
                                        ; implicit-def: $sgpr22
	s_delay_alu instid0(VALU_DEP_1)
	v_cmp_eq_u32_e32 vcc_lo, 0, v10
	s_branch .LBB4_682
.LBB4_679:                              ;   in Loop: Header=BB4_682 Depth=3
	v_add_co_u32 v11, s13, v48, v16
	s_wait_alu 0xf1ff
	v_add_co_ci_u32_e64 v12, null, 0, v49, s13
	s_or_b32 s26, s26, exec_lo
	v_cmp_ge_u64_e64 s13, v[11:12], v[8:9]
	s_or_not1_b32 s25, s13, exec_lo
.LBB4_680:                              ;   in Loop: Header=BB4_682 Depth=3
	s_wait_alu 0xfffe
	s_or_b32 exec_lo, exec_lo, s28
	s_delay_alu instid0(SALU_CYCLE_1)
	s_and_not1_b32 s13, s22, exec_lo
	s_and_b32 s22, s26, exec_lo
	s_and_not1_b32 s21, s21, exec_lo
	s_and_b32 s25, s25, exec_lo
	s_wait_alu 0xfffe
	s_or_b32 s22, s13, s22
	s_or_b32 s21, s21, s25
.LBB4_681:                              ;   in Loop: Header=BB4_682 Depth=3
	s_wait_alu 0xfffe
	s_or_b32 exec_lo, exec_lo, s24
	s_delay_alu instid0(SALU_CYCLE_1)
	s_and_b32 s13, exec_lo, s21
	s_wait_alu 0xfffe
	s_or_b32 s19, s13, s19
	s_and_not1_b32 s13, s20, exec_lo
	s_and_b32 s20, s22, exec_lo
	s_wait_alu 0xfffe
	s_or_b32 s20, s13, s20
	s_and_not1_b32 exec_lo, exec_lo, s19
	s_cbranch_execz .LBB4_686
.LBB4_682:                              ;   Parent Loop BB4_47 Depth=1
                                        ;     Parent Loop BB4_676 Depth=2
                                        ; =>    This Inner Loop Header: Depth=3
	s_sleep 1
	flat_load_b64 v[48:49], v[32:33] scope:SCOPE_SYS
	s_wait_loadcnt_dscnt 0x0
	global_inv scope:SCOPE_SYS
	s_or_b32 s22, s22, exec_lo
	s_or_b32 s21, s21, exec_lo
                                        ; implicit-def: $vgpr10
	s_and_saveexec_b32 s24, vcc_lo
	s_cbranch_execz .LBB4_681
; %bb.683:                              ;   in Loop: Header=BB4_682 Depth=3
	s_wait_alu 0xfffe
	s_cmp_lt_i32 s23, 0x270f
	s_mov_b32 s25, -1
	s_cselect_b32 s27, -1, 0
	s_cmp_gt_i32 s23, 0x270e
	s_cbranch_scc0 .LBB4_685
; %bb.684:                              ;   in Loop: Header=BB4_682 Depth=3
	s_trap 2
	ds_load_b64 v[10:11], v0
	s_wait_alu 0xfffe
	s_and_not1_b32 s23, s27, exec_lo
	s_mov_b32 s26, 0
	s_wait_storecnt 0x0
	s_wait_loadcnt_dscnt 0x0
	flat_load_b32 v10, v[10:11] scope:SCOPE_SYS
	s_wait_loadcnt_dscnt 0x0
	global_inv scope:SCOPE_SYS
	v_cmp_eq_u32_e64 s13, 0, v10
	s_and_b32 s13, s13, exec_lo
	s_wait_alu 0xfffe
	s_or_b32 s27, s23, s13
	s_mov_b32 s23, 0
	s_wait_alu 0xfffe
	s_and_saveexec_b32 s28, s27
	s_cbranch_execz .LBB4_680
	s_branch .LBB4_679
.LBB4_685:                              ;   in Loop: Header=BB4_682 Depth=3
	s_add_co_i32 s23, s23, 1
	s_mov_b32 s26, -1
                                        ; implicit-def: $vgpr10
	s_wait_alu 0xfffe
	s_and_saveexec_b32 s28, s27
	s_cbranch_execz .LBB4_680
	s_branch .LBB4_679
.LBB4_686:                              ;   in Loop: Header=BB4_676 Depth=2
	s_or_b32 exec_lo, exec_lo, s19
	s_wait_alu 0xfffe
	s_xor_b32 s13, s20, -1
	s_wait_alu 0xfffe
	s_and_saveexec_b32 s19, s13
	s_wait_alu 0xfffe
	s_xor_b32 s13, exec_lo, s19
	s_cbranch_execz .LBB4_688
; %bb.687:                              ;   in Loop: Header=BB4_676 Depth=2
	v_or_b32_e32 v30, 64, v30
	s_wait_loadcnt 0x0
	s_wait_storecnt 0x0
	ds_store_b32 v0, v10
	s_trap 2
.LBB4_688:                              ;   in Loop: Header=BB4_676 Depth=2
	s_wait_alu 0xfffe
	s_or_b32 exec_lo, exec_lo, s13
.LBB4_689:                              ;   in Loop: Header=BB4_676 Depth=2
	s_wait_alu 0xfffe
	s_or_b32 exec_lo, exec_lo, s18
	v_and_b32_e32 v10, 0x108, v30
	;;#ASMSTART
	s_wakeup
	;;#ASMEND
	s_delay_alu instid0(VALU_DEP_1)
	v_cmp_ne_u32_e32 vcc_lo, 0x108, v10
                                        ; implicit-def: $vgpr10_vgpr11
	s_and_saveexec_b32 s13, vcc_lo
	s_wait_alu 0xfffe
	s_xor_b32 s13, exec_lo, s13
; %bb.690:                              ;   in Loop: Header=BB4_676 Depth=2
	v_dual_mov_b32 v11, v2 :: v_dual_and_b32 v10, 7, v64
                                        ; implicit-def: $vgpr64_vgpr65
; %bb.691:                              ;   in Loop: Header=BB4_676 Depth=2
	s_wait_alu 0xfffe
	s_and_not1_saveexec_b32 s13, s13
	s_cbranch_execz .LBB4_693
; %bb.692:                              ;   in Loop: Header=BB4_676 Depth=2
	v_dual_mov_b32 v11, v2 :: v_dual_and_b32 v10, 7, v64
	v_ashrrev_i32_e32 v69, 31, v68
	s_delay_alu instid0(VALU_DEP_2)
	v_mad_co_u64_u32 v[12:13], null, v10, 24, v[6:7]
	flat_store_b64 v[12:13], v[68:69] offset:8
.LBB4_693:                              ;   in Loop: Header=BB4_676 Depth=2
	s_wait_alu 0xfffe
	s_or_b32 exec_lo, exec_lo, s13
	v_and_b32_e32 v12, 0x100, v30
	s_mov_b32 s13, -1
	s_delay_alu instid0(VALU_DEP_1)
	v_cmp_ne_u32_e32 vcc_lo, 0, v12
                                        ; implicit-def: $vgpr12_vgpr13
	s_and_saveexec_b32 s18, vcc_lo
	s_cbranch_execz .LBB4_697
; %bb.694:                              ;   in Loop: Header=BB4_676 Depth=2
	v_mad_co_u64_u32 v[14:15], null, v10, 24, v[6:7]
	s_delay_alu instid0(VALU_DEP_1) | instskip(NEXT) | instid1(VALU_DEP_1)
	v_mov_b32_e32 v12, v15
	v_mad_co_u64_u32 v[12:13], null, v11, 24, v[12:13]
	s_delay_alu instid0(VALU_DEP_1)
	v_mov_b32_e32 v15, v12
	flat_load_b32 v12, v[14:15]
	s_wait_loadcnt_dscnt 0x0
	v_cmp_eq_u32_e64 s13, 1, v12
	v_cmp_ne_u32_e32 vcc_lo, 1, v12
                                        ; implicit-def: $vgpr12_vgpr13
	s_wait_alu 0xfffe
	s_and_saveexec_b32 s19, s13
	s_cbranch_execz .LBB4_696
; %bb.695:                              ;   in Loop: Header=BB4_676 Depth=2
	flat_load_b32 v12, v[14:15] offset:4 scope:SCOPE_SYS
	s_wait_loadcnt_dscnt 0x0
	v_ashrrev_i32_e32 v13, 31, v12
.LBB4_696:                              ;   in Loop: Header=BB4_676 Depth=2
	s_wait_alu 0xfffe
	s_or_b32 exec_lo, exec_lo, s19
	s_delay_alu instid0(SALU_CYCLE_1)
	s_or_not1_b32 s13, vcc_lo, exec_lo
.LBB4_697:                              ;   in Loop: Header=BB4_676 Depth=2
	s_wait_alu 0xfffe
	s_or_b32 exec_lo, exec_lo, s18
	s_and_saveexec_b32 s18, s13
; %bb.698:                              ;   in Loop: Header=BB4_676 Depth=2
	v_mul_lo_u32 v11, v11, v100
	v_mul_lo_u32 v14, v10, v102
	v_mad_co_u64_u32 v[12:13], null, v10, v100, 0
	s_delay_alu instid0(VALU_DEP_1)
	v_add3_u32 v13, v13, v14, v11
; %bb.699:                              ;   in Loop: Header=BB4_676 Depth=2
	s_wait_alu 0xfffe
	s_or_b32 exec_lo, exec_lo, s18
	v_cmp_eq_u32_e32 vcc_lo, 0, v16
	v_and_b32_e32 v15, 0x2000, v30
	s_mov_b32 s13, exec_lo
	s_wait_alu 0xfffd
	v_cndmask_b32_e32 v14, 0xd0, v114, vcc_lo
	v_add_co_u32 v10, vcc_lo, v34, v12
	s_wait_alu 0xfffd
	v_add_co_ci_u32_e64 v11, null, v35, v13, vcc_lo
	s_delay_alu instid0(VALU_DEP_3)
	v_add_nc_u32_e32 v12, v0, v14
	ds_store_b64 v12, v[10:11] offset:584
	v_cmpx_ne_u32_e32 0, v15
	s_cbranch_execz .LBB4_701
; %bb.700:                              ;   in Loop: Header=BB4_676 Depth=2
	ds_load_b64 v[10:11], v0 offset:872
	s_wait_dscnt 0x0
	v_add_co_u32 v10, vcc_lo, v10, 1
	s_wait_alu 0xfffd
	v_add_co_ci_u32_e64 v11, null, 0, v11, vcc_lo
	ds_store_b64 v0, v[10:11] offset:872
.LBB4_701:                              ;   in Loop: Header=BB4_676 Depth=2
	s_wait_alu 0xfffe
	s_or_b32 exec_lo, exec_lo, s13
	v_dual_mov_b32 v65, v9 :: v_dual_mov_b32 v64, v8
.LBB4_702:                              ;   in Loop: Header=BB4_676 Depth=2
	s_wait_alu 0xfffe
	s_or_b32 exec_lo, exec_lo, s17
	s_xor_b32 s13, s16, -1
	s_wait_alu 0xfffe
	s_and_b32 s13, exec_lo, s13
	s_wait_alu 0xfffe
	s_or_b32 s15, s13, s15
	s_and_saveexec_b32 s13, s2
	s_cbranch_execz .LBB4_721
; %bb.703:                              ;   in Loop: Header=BB4_676 Depth=2
	s_and_saveexec_b32 s16, s3
	s_wait_alu 0xfffe
	s_xor_b32 s16, exec_lo, s16
	s_cbranch_execz .LBB4_718
; %bb.704:                              ;   in Loop: Header=BB4_676 Depth=2
	s_and_saveexec_b32 s17, s6
	s_cbranch_execz .LBB4_717
; %bb.705:                              ;   in Loop: Header=BB4_676 Depth=2
	s_mov_b32 s19, exec_lo
	s_mov_b32 s18, exec_lo
	s_wait_alu 0xfffe
	v_mbcnt_lo_u32_b32 v8, s19, 0
	s_wait_storecnt 0x0
	s_wait_loadcnt_dscnt 0x0
	global_inv scope:SCOPE_DEV
	v_cmpx_eq_u32_e32 0, v8
	s_cbranch_execz .LBB4_707
; %bb.706:                              ;   in Loop: Header=BB4_676 Depth=2
	s_bcnt1_i32_b32 s19, s19
	s_wait_alu 0xfffe
	v_dual_mov_b32 v9, v2 :: v_dual_mov_b32 v8, s19
	s_wait_loadcnt 0x0
	ds_add_u64 v0, v[8:9]
	s_trap 2
.LBB4_707:                              ;   in Loop: Header=BB4_676 Depth=2
	s_or_b32 exec_lo, exec_lo, s18
	s_trap 2
	ds_load_b64 v[8:9], v0
	s_wait_dscnt 0x0
	global_inv scope:SCOPE_SE
	v_add_co_u32 v38, vcc_lo, v38, v103
	s_wait_alu 0xfffd
	v_add_co_ci_u32_e64 v39, null, 0, v39, vcc_lo
	s_mov_b32 s18, exec_lo
	v_cmpx_lt_u64_e64 v[8:9], v[38:39]
	s_cbranch_execz .LBB4_716
; %bb.708:                              ;   in Loop: Header=BB4_676 Depth=2
	s_mov_b32 s19, 0
	s_mov_b32 s22, 0
                                        ; implicit-def: $sgpr20
                                        ; implicit-def: $sgpr21
	s_branch .LBB4_710
.LBB4_709:                              ;   in Loop: Header=BB4_710 Depth=3
	s_wait_alu 0xfffe
	s_or_b32 exec_lo, exec_lo, s24
	s_delay_alu instid0(SALU_CYCLE_1)
	s_and_b32 s23, exec_lo, s25
	s_wait_alu 0xfffe
	s_or_b32 s19, s23, s19
	s_and_not1_b32 s20, s20, exec_lo
	s_and_b32 s23, s21, exec_lo
	s_wait_alu 0xfffe
	s_or_b32 s20, s20, s23
	s_and_not1_b32 exec_lo, exec_lo, s19
	s_cbranch_execz .LBB4_714
.LBB4_710:                              ;   Parent Loop BB4_47 Depth=1
                                        ;     Parent Loop BB4_676 Depth=2
                                        ; =>    This Inner Loop Header: Depth=3
	s_wait_alu 0xfffe
	s_add_co_i32 s22, s22, 1
	s_wait_alu 0xfffe
	s_cmp_lg_u32 s22, 0x2710
	s_cselect_b32 s23, -1, 0
	s_wait_alu 0xfffe
	s_and_b32 vcc_lo, exec_lo, s23
	s_wait_alu 0xfffe
	s_cbranch_vccz .LBB4_712
; %bb.711:                              ;   in Loop: Header=BB4_710 Depth=3
	s_mov_b32 s25, -1
	s_or_b32 s21, s21, exec_lo
	s_and_saveexec_b32 s24, s23
	s_cbranch_execz .LBB4_709
	s_branch .LBB4_713
.LBB4_712:                              ;   in Loop: Header=BB4_710 Depth=3
	s_trap 2
	ds_load_b64 v[8:9], v0
	s_and_not1_b32 s23, s23, exec_lo
	s_mov_b32 s22, 0
	s_wait_loadcnt_dscnt 0x0
	flat_load_b32 v8, v[8:9] scope:SCOPE_SYS
	s_wait_loadcnt_dscnt 0x0
	global_inv scope:SCOPE_SYS
	v_cmp_eq_u32_e32 vcc_lo, 0, v8
	s_and_b32 s24, vcc_lo, exec_lo
	s_wait_alu 0xfffe
	s_or_b32 s23, s23, s24
	s_mov_b32 s25, -1
	s_or_b32 s21, s21, exec_lo
	s_wait_alu 0xfffe
	s_and_saveexec_b32 s24, s23
	s_cbranch_execz .LBB4_709
.LBB4_713:                              ;   in Loop: Header=BB4_710 Depth=3
	s_sleep 1
	s_trap 2
	ds_load_b64 v[8:9], v0
	s_wait_dscnt 0x0
	global_inv scope:SCOPE_SE
	s_wait_alu 0xfffe
	s_and_not1_b32 s21, s21, exec_lo
	v_cmp_ge_u64_e32 vcc_lo, v[8:9], v[38:39]
	s_or_not1_b32 s25, vcc_lo, exec_lo
	s_branch .LBB4_709
.LBB4_714:                              ;   in Loop: Header=BB4_676 Depth=2
	s_or_b32 exec_lo, exec_lo, s19
	s_wait_alu 0xfffe
	s_and_saveexec_b32 s19, s20
	s_wait_alu 0xfffe
	s_xor_b32 s19, exec_lo, s19
	s_cbranch_execz .LBB4_716
; %bb.715:                              ;   in Loop: Header=BB4_676 Depth=2
	ds_store_b32 v0, v113
	s_trap 2
.LBB4_716:                              ;   in Loop: Header=BB4_676 Depth=2
	s_wait_alu 0xfffe
	s_or_b32 exec_lo, exec_lo, s18
	;;#ASMSTART
	s_wakeup
	;;#ASMEND
.LBB4_717:                              ;   in Loop: Header=BB4_676 Depth=2
	s_wait_alu 0xfffe
	s_or_b32 exec_lo, exec_lo, s17
.LBB4_718:                              ;   in Loop: Header=BB4_676 Depth=2
	s_wait_alu 0xfffe
	s_and_not1_saveexec_b32 s16, s16
	s_cbranch_execz .LBB4_720
; %bb.719:                              ;   in Loop: Header=BB4_676 Depth=2
	s_wait_storecnt 0x0
	s_wait_loadcnt_dscnt 0x0
	global_inv scope:SCOPE_DEV
	s_barrier_signal -1
	s_barrier_wait -1
.LBB4_720:                              ;   in Loop: Header=BB4_676 Depth=2
	s_wait_alu 0xfffe
	s_or_b32 exec_lo, exec_lo, s16
.LBB4_721:                              ;   in Loop: Header=BB4_676 Depth=2
	s_wait_alu 0xfffe
	s_or_b32 exec_lo, exec_lo, s13
                                        ; implicit-def: $vgpr8
	s_and_saveexec_b32 s13, s10
	s_wait_alu 0xfffe
	s_xor_b32 s16, exec_lo, s13
	s_cbranch_execz .LBB4_725
; %bb.722:                              ;   in Loop: Header=BB4_676 Depth=2
	s_trap 2
	ds_load_b32 v8, v0
	v_cmp_lt_i32_e32 vcc_lo, 0, v68
	s_wait_dscnt 0x0
	v_readfirstlane_b32 s13, v8
	v_and_b32_e32 v8, 16, v30
	s_cmp_eq_u32 s13, 0
	s_delay_alu instid0(VALU_DEP_1)
	v_cmp_ne_u32_e64 s13, 0, v8
	s_cselect_b32 s17, -1, 0
	v_and_b32_e32 v8, 16, v30
	s_wait_alu 0xfffe
	s_and_b32 s17, vcc_lo, s17
	s_wait_alu 0xfffe
	s_and_b32 s17, s13, s17
	s_wait_alu 0xfffe
	s_and_saveexec_b32 s13, s17
	s_cbranch_execz .LBB4_724
; %bb.723:                              ;   in Loop: Header=BB4_676 Depth=2
	v_mov_b32_e32 v8, 1
	global_wb scope:SCOPE_SYS
	s_wait_loadcnt 0x0
	s_wait_storecnt 0x0
	global_inv scope:SCOPE_SYS
.LBB4_724:                              ;   in Loop: Header=BB4_676 Depth=2
	s_wait_alu 0xfffe
	s_or_b32 exec_lo, exec_lo, s13
	s_and_not1_saveexec_b32 s13, s16
	s_cbranch_execz .LBB4_744
	s_branch .LBB4_726
.LBB4_725:                              ;   in Loop: Header=BB4_676 Depth=2
	s_wait_alu 0xfffe
	s_and_not1_saveexec_b32 s13, s16
	s_cbranch_execz .LBB4_744
.LBB4_726:                              ;   in Loop: Header=BB4_676 Depth=2
	s_and_saveexec_b32 s16, s3
	s_wait_alu 0xfffe
	s_xor_b32 s16, exec_lo, s16
	s_cbranch_execz .LBB4_741
; %bb.727:                              ;   in Loop: Header=BB4_676 Depth=2
	s_and_saveexec_b32 s17, s6
	s_cbranch_execz .LBB4_740
; %bb.728:                              ;   in Loop: Header=BB4_676 Depth=2
	s_mov_b32 s19, exec_lo
	s_mov_b32 s18, exec_lo
	s_wait_alu 0xfffe
	v_mbcnt_lo_u32_b32 v8, s19, 0
	;;#ASMSTART
	s_waitcnt lgkmcnt(0) vmcnt(0)
	;;#ASMEND
	s_delay_alu instid0(VALU_DEP_1)
	v_cmpx_eq_u32_e32 0, v8
	s_cbranch_execz .LBB4_730
; %bb.729:                              ;   in Loop: Header=BB4_676 Depth=2
	s_bcnt1_i32_b32 s19, s19
	s_wait_alu 0xfffe
	v_dual_mov_b32 v9, v2 :: v_dual_mov_b32 v8, s19
	s_wait_storecnt 0x0
	s_wait_loadcnt_dscnt 0x0
	ds_add_u64 v0, v[8:9]
	s_trap 2
.LBB4_730:                              ;   in Loop: Header=BB4_676 Depth=2
	s_or_b32 exec_lo, exec_lo, s18
	s_trap 2
	ds_load_b64 v[8:9], v0
	s_wait_dscnt 0x0
	global_inv scope:SCOPE_SE
	v_add_co_u32 v38, vcc_lo, v38, v103
	s_wait_alu 0xfffd
	v_add_co_ci_u32_e64 v39, null, 0, v39, vcc_lo
	s_mov_b32 s18, exec_lo
	v_cmpx_lt_u64_e64 v[8:9], v[38:39]
	s_cbranch_execz .LBB4_739
; %bb.731:                              ;   in Loop: Header=BB4_676 Depth=2
	s_mov_b32 s19, 0
	s_mov_b32 s22, 0
                                        ; implicit-def: $sgpr20
                                        ; implicit-def: $sgpr21
	s_branch .LBB4_733
.LBB4_732:                              ;   in Loop: Header=BB4_733 Depth=3
	s_wait_alu 0xfffe
	s_or_b32 exec_lo, exec_lo, s24
	s_delay_alu instid0(SALU_CYCLE_1)
	s_and_b32 s23, exec_lo, s25
	s_wait_alu 0xfffe
	s_or_b32 s19, s23, s19
	s_and_not1_b32 s20, s20, exec_lo
	s_and_b32 s23, s21, exec_lo
	s_wait_alu 0xfffe
	s_or_b32 s20, s20, s23
	s_and_not1_b32 exec_lo, exec_lo, s19
	s_cbranch_execz .LBB4_737
.LBB4_733:                              ;   Parent Loop BB4_47 Depth=1
                                        ;     Parent Loop BB4_676 Depth=2
                                        ; =>    This Inner Loop Header: Depth=3
	s_wait_alu 0xfffe
	s_add_co_i32 s22, s22, 1
	s_wait_alu 0xfffe
	s_cmp_lg_u32 s22, 0x2710
	s_cselect_b32 s23, -1, 0
	s_wait_alu 0xfffe
	s_and_b32 vcc_lo, exec_lo, s23
	s_wait_alu 0xfffe
	s_cbranch_vccz .LBB4_735
; %bb.734:                              ;   in Loop: Header=BB4_733 Depth=3
	s_mov_b32 s25, -1
	s_or_b32 s21, s21, exec_lo
	s_and_saveexec_b32 s24, s23
	s_cbranch_execz .LBB4_732
	s_branch .LBB4_736
.LBB4_735:                              ;   in Loop: Header=BB4_733 Depth=3
	s_trap 2
	ds_load_b64 v[8:9], v0
	s_and_not1_b32 s23, s23, exec_lo
	s_mov_b32 s22, 0
	s_wait_storecnt 0x0
	s_wait_loadcnt_dscnt 0x0
	flat_load_b32 v8, v[8:9] scope:SCOPE_SYS
	s_wait_loadcnt_dscnt 0x0
	global_inv scope:SCOPE_SYS
	v_cmp_eq_u32_e32 vcc_lo, 0, v8
	s_and_b32 s24, vcc_lo, exec_lo
	s_wait_alu 0xfffe
	s_or_b32 s23, s23, s24
	s_mov_b32 s25, -1
	s_or_b32 s21, s21, exec_lo
	s_wait_alu 0xfffe
	s_and_saveexec_b32 s24, s23
	s_cbranch_execz .LBB4_732
.LBB4_736:                              ;   in Loop: Header=BB4_733 Depth=3
	s_sleep 1
	s_trap 2
	ds_load_b64 v[8:9], v0
	s_wait_dscnt 0x0
	global_inv scope:SCOPE_SE
	s_wait_alu 0xfffe
	s_and_not1_b32 s21, s21, exec_lo
	v_cmp_ge_u64_e32 vcc_lo, v[8:9], v[38:39]
	s_or_not1_b32 s25, vcc_lo, exec_lo
	s_branch .LBB4_732
.LBB4_737:                              ;   in Loop: Header=BB4_676 Depth=2
	s_or_b32 exec_lo, exec_lo, s19
	s_wait_alu 0xfffe
	s_and_saveexec_b32 s19, s20
	s_wait_alu 0xfffe
	s_xor_b32 s19, exec_lo, s19
	s_cbranch_execz .LBB4_739
; %bb.738:                              ;   in Loop: Header=BB4_676 Depth=2
	ds_store_b32 v0, v113
	s_trap 2
.LBB4_739:                              ;   in Loop: Header=BB4_676 Depth=2
	s_wait_alu 0xfffe
	s_or_b32 exec_lo, exec_lo, s18
	;;#ASMSTART
	s_wakeup
	;;#ASMEND
.LBB4_740:                              ;   in Loop: Header=BB4_676 Depth=2
	s_wait_alu 0xfffe
	s_or_b32 exec_lo, exec_lo, s17
.LBB4_741:                              ;   in Loop: Header=BB4_676 Depth=2
	s_wait_alu 0xfffe
	s_and_not1_saveexec_b32 s16, s16
	s_cbranch_execz .LBB4_743
; %bb.742:                              ;   in Loop: Header=BB4_676 Depth=2
	;;#ASMSTART
	s_waitcnt lgkmcnt(0) vmcnt(0)
	;;#ASMEND
	s_barrier_signal -1
	s_barrier_wait -1
.LBB4_743:                              ;   in Loop: Header=BB4_676 Depth=2
	s_wait_alu 0xfffe
	s_or_b32 exec_lo, exec_lo, s16
	v_and_b32_e32 v8, 16, v30
.LBB4_744:                              ;   in Loop: Header=BB4_676 Depth=2
	s_wait_alu 0xfffe
	s_or_b32 exec_lo, exec_lo, s13
	s_delay_alu instid0(VALU_DEP_1)
	v_cmp_ne_u32_e32 vcc_lo, 0, v8
	s_xor_b32 s13, s4, -1
	s_wait_alu 0xfffe
	s_and_b32 s16, vcc_lo, s13
	s_wait_alu 0xfffe
	s_and_saveexec_b32 s13, s16
	s_cbranch_execz .LBB4_746
; %bb.745:                              ;   in Loop: Header=BB4_676 Depth=2
	global_wb scope:SCOPE_SYS
	s_wait_storecnt 0x0
	s_wait_loadcnt_dscnt 0x0
	flat_store_b32 v[36:37], v113 scope:SCOPE_SYS
.LBB4_746:                              ;   in Loop: Header=BB4_676 Depth=2
	s_wait_alu 0xfffe
	s_or_b32 exec_lo, exec_lo, s13
	v_and_b32_e32 v8, 48, v30
	s_mov_b32 s13, exec_lo
	s_delay_alu instid0(VALU_DEP_1)
	v_cmpx_ne_u32_e32 0, v8
	s_cbranch_execz .LBB4_675
; %bb.747:                              ;   in Loop: Header=BB4_676 Depth=2
	v_add_co_u32 v64, vcc_lo, v64, 2
	s_wait_alu 0xfffd
	v_add_co_ci_u32_e64 v65, null, 0, v65, vcc_lo
	global_wb scope:SCOPE_SYS
	s_wait_storecnt 0x0
	s_wait_loadcnt_dscnt 0x0
	flat_store_b64 v[32:33], v[64:65] scope:SCOPE_SYS
	s_branch .LBB4_675
.LBB4_748:                              ;   in Loop: Header=BB4_47 Depth=1
	s_or_b32 exec_lo, exec_lo, s15
.LBB4_749:                              ;   in Loop: Header=BB4_47 Depth=1
	s_wait_alu 0xfffe
	s_or_b32 exec_lo, exec_lo, s14
	s_delay_alu instid0(SALU_CYCLE_1)
	s_and_not1_b32 vcc_lo, exec_lo, s93
	s_wait_alu 0xfffe
	s_cbranch_vccnz .LBB4_1010
; %bb.750:                              ;   in Loop: Header=BB4_47 Depth=1
	s_mov_b32 s18, 1
.LBB4_751:                              ;   Parent Loop BB4_47 Depth=1
                                        ; =>  This Loop Header: Depth=2
                                        ;       Child Loop BB4_754 Depth 3
                                        ;         Child Loop BB4_762 Depth 4
                                        ;         Child Loop BB4_790 Depth 4
	;; [unrolled: 1-line block ×5, first 2 shown]
                                        ;           Child Loop BB4_842 Depth 5
                                        ;         Child Loop BB4_851 Depth 4
                                        ;         Child Loop BB4_856 Depth 4
                                        ;           Child Loop BB4_857 Depth 5
                                        ;         Child Loop BB4_869 Depth 4
                                        ;         Child Loop BB4_874 Depth 4
	;; [unrolled: 1-line block ×6, first 2 shown]
                                        ;       Child Loop BB4_935 Depth 3
                                        ;         Child Loop BB4_941 Depth 4
                                        ;         Child Loop BB4_969 Depth 4
	;; [unrolled: 1-line block ×3, first 2 shown]
	s_wait_alu 0xfffe
	s_sub_co_i32 s13, s88, s18
	s_mov_b32 s20, 0
	s_wait_alu 0xfffe
	s_cmp_ge_i32 s13, s72
	v_mov_b32_e32 v21, 0
	s_cselect_b32 s14, s72, 0
	s_wait_alu 0xfffe
	s_sub_co_i32 s13, s13, s14
	s_wait_alu 0xfffe
	s_ashr_i32 s14, s13, 31
	v_mul_lo_u32 v3, v55, s13
	v_mad_co_u64_u32 v[8:9], null, v54, s13, 0
	s_wait_alu 0xfffe
	v_mul_lo_u32 v10, v54, s14
	s_delay_alu instid0(VALU_DEP_1) | instskip(NEXT) | instid1(VALU_DEP_3)
	v_add3_u32 v9, v9, v10, v3
	v_sub_co_u32 v10, vcc_lo, v66, v8
	s_wait_alu 0xfffd
	s_delay_alu instid0(VALU_DEP_2) | instskip(NEXT) | instid1(VALU_DEP_1)
	v_sub_co_ci_u32_e64 v11, null, v67, v9, vcc_lo
	v_cmp_lt_i64_e32 vcc_lo, v[54:55], v[10:11]
	s_wait_alu 0xfffd
	v_cndmask_b32_e32 v11, v10, v54, vcc_lo
	s_delay_alu instid0(VALU_DEP_1) | instskip(NEXT) | instid1(VALU_DEP_1)
	v_max_i32_e32 v3, 0, v11
	v_add_nc_u32_e32 v10, 31, v3
	v_cmp_lt_i32_e32 vcc_lo, 0, v11
	s_delay_alu instid0(VALU_DEP_2) | instskip(SKIP_1) | instid1(VALU_DEP_1)
	v_lshrrev_b32_e32 v10, 1, v10
	s_and_b32 s13, vcc_hi, vcc_lo
	v_and_b32_e32 v12, 0x3ffffff0, v10
	v_mov_b32_e32 v10, 0
	s_delay_alu instid0(VALU_DEP_2)
	v_max_i32_e32 v12, s92, v12
	s_wait_alu 0xfffe
	s_and_saveexec_b32 s19, s13
	s_cbranch_execz .LBB4_932
; %bb.752:                              ;   in Loop: Header=BB4_751 Depth=2
	v_add_co_u32 v22, vcc_lo, v8, v149
	s_wait_alu 0xfffd
	v_add_co_ci_u32_e64 v23, null, v9, v150, vcc_lo
	v_mov_b32_e32 v21, 0
	s_mov_b32 s22, 1
	s_mov_b32 s21, -1
	s_branch .LBB4_754
.LBB4_753:                              ;   in Loop: Header=BB4_754 Depth=3
	s_wait_alu 0xfffe
	s_or_b32 exec_lo, exec_lo, s13
	v_dual_mov_b32 v10, s22 :: v_dual_add_nc_u32 v21, v12, v21
	s_xor_b32 s13, s21, -1
	s_mov_b32 s21, 0
	s_mov_b32 s22, 2
	s_delay_alu instid0(VALU_DEP_1)
	v_cmp_ge_i32_e32 vcc_lo, v21, v3
	s_wait_alu 0xfffe
	s_or_b32 s13, s13, vcc_lo
	s_wait_alu 0xfffe
	s_and_b32 s13, exec_lo, s13
	s_wait_alu 0xfffe
	s_or_b32 s20, s13, s20
	s_wait_alu 0xfffe
	s_and_not1_b32 exec_lo, exec_lo, s20
	s_cbranch_execz .LBB4_931
.LBB4_754:                              ;   Parent Loop BB4_47 Depth=1
                                        ;     Parent Loop BB4_751 Depth=2
                                        ; =>    This Loop Header: Depth=3
                                        ;         Child Loop BB4_762 Depth 4
                                        ;         Child Loop BB4_790 Depth 4
	;; [unrolled: 1-line block ×5, first 2 shown]
                                        ;           Child Loop BB4_842 Depth 5
                                        ;         Child Loop BB4_851 Depth 4
                                        ;         Child Loop BB4_856 Depth 4
                                        ;           Child Loop BB4_857 Depth 5
                                        ;         Child Loop BB4_869 Depth 4
                                        ;         Child Loop BB4_874 Depth 4
	;; [unrolled: 1-line block ×6, first 2 shown]
	s_and_saveexec_b32 s14, s0
	s_cbranch_execz .LBB4_756
; %bb.755:                              ;   in Loop: Header=BB4_754 Depth=3
	s_trap 2
	ds_load_b128 v[8:11], v0
	v_ashrrev_i32_e32 v13, 31, v21
	s_wait_dscnt 0x0
	v_add_co_u32 v14, vcc_lo, v10, v22
	s_wait_alu 0xfffd
	v_add_co_ci_u32_e64 v15, null, v11, v23, vcc_lo
	v_add_co_u32 v8, vcc_lo, v8, v22
	s_wait_alu 0xfffd
	v_add_co_ci_u32_e64 v9, null, v9, v23, vcc_lo
	;; [unrolled: 3-line block ×3, first 2 shown]
	v_cmp_ne_u64_e32 vcc_lo, 0, v[10:11]
	v_add_co_u32 v8, s13, v8, v21
	s_wait_alu 0xf1ff
	v_add_co_ci_u32_e64 v9, null, v9, v13, s13
	s_wait_alu 0xfffd
	v_dual_cndmask_b32 v11, 0, v15 :: v_dual_cndmask_b32 v10, 0, v14
	ds_store_b64 v0, v[8:9]
	ds_store_b64 v0, v[10:11]
.LBB4_756:                              ;   in Loop: Header=BB4_754 Depth=3
	s_wait_alu 0xfffe
	s_or_b32 exec_lo, exec_lo, s14
	v_sub_nc_u32_e32 v8, v3, v21
	v_and_b32_e32 v9, 12, v30
	s_mov_b32 s14, exec_lo
	s_delay_alu instid0(VALU_DEP_2) | instskip(NEXT) | instid1(VALU_DEP_2)
	v_min_i32_e32 v12, v12, v8
	v_cmpx_ne_u32_e32 0, v9
	s_cbranch_execz .LBB4_782
; %bb.757:                              ;   in Loop: Header=BB4_754 Depth=3
	v_and_b32_e32 v17, 8, v30
	s_mov_b32 s15, exec_lo
	s_delay_alu instid0(VALU_DEP_1)
	v_add_co_u32 v10, vcc_lo, v48, v17
	s_wait_alu 0xfffd
	v_add_co_ci_u32_e64 v11, null, 0, v49, vcc_lo
	v_add_co_u32 v8, vcc_lo, v64, 2
	s_wait_alu 0xfffd
	v_add_co_ci_u32_e64 v9, null, 0, v65, vcc_lo
	s_delay_alu instid0(VALU_DEP_1)
	v_cmpx_lt_u64_e64 v[10:11], v[8:9]
	s_cbranch_execz .LBB4_769
; %bb.758:                              ;   in Loop: Header=BB4_754 Depth=3
	v_and_b32_e32 v10, 64, v30
	s_mov_b32 s16, 0
	s_mov_b32 s25, 0
                                        ; implicit-def: $sgpr17
                                        ; implicit-def: $sgpr23
                                        ; implicit-def: $sgpr24
	s_delay_alu instid0(VALU_DEP_1)
	v_cmp_eq_u32_e32 vcc_lo, 0, v10
	s_branch .LBB4_762
.LBB4_759:                              ;   in Loop: Header=BB4_762 Depth=4
	v_add_co_u32 v13, s13, v48, v17
	s_wait_alu 0xf1ff
	v_add_co_ci_u32_e64 v14, null, 0, v49, s13
	s_or_b32 s28, s28, exec_lo
	v_cmp_ge_u64_e64 s13, v[13:14], v[8:9]
	s_or_not1_b32 s27, s13, exec_lo
.LBB4_760:                              ;   in Loop: Header=BB4_762 Depth=4
	s_wait_alu 0xfffe
	s_or_b32 exec_lo, exec_lo, s40
	s_delay_alu instid0(SALU_CYCLE_1)
	s_and_not1_b32 s13, s24, exec_lo
	s_and_b32 s24, s28, exec_lo
	s_and_not1_b32 s23, s23, exec_lo
	s_and_b32 s27, s27, exec_lo
	s_wait_alu 0xfffe
	s_or_b32 s24, s13, s24
	s_or_b32 s23, s23, s27
.LBB4_761:                              ;   in Loop: Header=BB4_762 Depth=4
	s_wait_alu 0xfffe
	s_or_b32 exec_lo, exec_lo, s26
	s_delay_alu instid0(SALU_CYCLE_1)
	s_and_b32 s13, exec_lo, s23
	s_wait_alu 0xfffe
	s_or_b32 s16, s13, s16
	s_and_not1_b32 s13, s17, exec_lo
	s_and_b32 s17, s24, exec_lo
	s_wait_alu 0xfffe
	s_or_b32 s17, s13, s17
	s_and_not1_b32 exec_lo, exec_lo, s16
	s_cbranch_execz .LBB4_766
.LBB4_762:                              ;   Parent Loop BB4_47 Depth=1
                                        ;     Parent Loop BB4_751 Depth=2
                                        ;       Parent Loop BB4_754 Depth=3
                                        ; =>      This Inner Loop Header: Depth=4
	s_sleep 1
	flat_load_b64 v[48:49], v[32:33] scope:SCOPE_SYS
	s_wait_loadcnt_dscnt 0x0
	global_inv scope:SCOPE_SYS
	s_or_b32 s24, s24, exec_lo
	s_or_b32 s23, s23, exec_lo
                                        ; implicit-def: $vgpr10
	s_and_saveexec_b32 s26, vcc_lo
	s_cbranch_execz .LBB4_761
; %bb.763:                              ;   in Loop: Header=BB4_762 Depth=4
	s_wait_alu 0xfffe
	s_cmp_lt_i32 s25, 0x270f
	s_mov_b32 s27, -1
	s_cselect_b32 s29, -1, 0
	s_cmp_gt_i32 s25, 0x270e
	s_cbranch_scc0 .LBB4_765
; %bb.764:                              ;   in Loop: Header=BB4_762 Depth=4
	s_trap 2
	ds_load_b64 v[10:11], v0
	s_wait_alu 0xfffe
	s_and_not1_b32 s25, s29, exec_lo
	s_mov_b32 s28, 0
	s_wait_storecnt 0x0
	s_wait_loadcnt_dscnt 0x0
	flat_load_b32 v10, v[10:11] scope:SCOPE_SYS
	s_wait_loadcnt_dscnt 0x0
	global_inv scope:SCOPE_SYS
	v_cmp_eq_u32_e64 s13, 0, v10
	s_and_b32 s13, s13, exec_lo
	s_wait_alu 0xfffe
	s_or_b32 s29, s25, s13
	s_mov_b32 s25, 0
	s_wait_alu 0xfffe
	s_and_saveexec_b32 s40, s29
	s_cbranch_execz .LBB4_760
	s_branch .LBB4_759
.LBB4_765:                              ;   in Loop: Header=BB4_762 Depth=4
	s_add_co_i32 s25, s25, 1
	s_mov_b32 s28, -1
                                        ; implicit-def: $vgpr10
	s_wait_alu 0xfffe
	s_and_saveexec_b32 s40, s29
	s_cbranch_execz .LBB4_760
	s_branch .LBB4_759
.LBB4_766:                              ;   in Loop: Header=BB4_754 Depth=3
	s_or_b32 exec_lo, exec_lo, s16
	s_wait_alu 0xfffe
	s_xor_b32 s13, s17, -1
	s_wait_alu 0xfffe
	s_and_saveexec_b32 s16, s13
	s_wait_alu 0xfffe
	s_xor_b32 s13, exec_lo, s16
	s_cbranch_execz .LBB4_768
; %bb.767:                              ;   in Loop: Header=BB4_754 Depth=3
	v_or_b32_e32 v30, 64, v30
	s_wait_loadcnt 0x0
	s_wait_storecnt 0x0
	ds_store_b32 v0, v10
	s_trap 2
.LBB4_768:                              ;   in Loop: Header=BB4_754 Depth=3
	s_wait_alu 0xfffe
	s_or_b32 exec_lo, exec_lo, s13
.LBB4_769:                              ;   in Loop: Header=BB4_754 Depth=3
	s_wait_alu 0xfffe
	s_or_b32 exec_lo, exec_lo, s15
	v_and_b32_e32 v10, 0x108, v30
	;;#ASMSTART
	s_wakeup
	;;#ASMEND
	s_delay_alu instid0(VALU_DEP_1)
	v_cmp_ne_u32_e32 vcc_lo, 0x108, v10
                                        ; implicit-def: $vgpr10_vgpr11
	s_and_saveexec_b32 s13, vcc_lo
	s_wait_alu 0xfffe
	s_xor_b32 s13, exec_lo, s13
; %bb.770:                              ;   in Loop: Header=BB4_754 Depth=3
	v_dual_mov_b32 v11, v2 :: v_dual_and_b32 v10, 7, v64
                                        ; implicit-def: $vgpr64_vgpr65
; %bb.771:                              ;   in Loop: Header=BB4_754 Depth=3
	s_wait_alu 0xfffe
	s_and_not1_saveexec_b32 s13, s13
	s_cbranch_execz .LBB4_773
; %bb.772:                              ;   in Loop: Header=BB4_754 Depth=3
	v_dual_mov_b32 v11, v2 :: v_dual_and_b32 v10, 7, v64
	v_ashrrev_i32_e32 v13, 31, v12
	s_delay_alu instid0(VALU_DEP_2)
	v_mad_co_u64_u32 v[14:15], null, v10, 24, v[6:7]
	flat_store_b64 v[14:15], v[12:13] offset:8
.LBB4_773:                              ;   in Loop: Header=BB4_754 Depth=3
	s_wait_alu 0xfffe
	s_or_b32 exec_lo, exec_lo, s13
	v_and_b32_e32 v13, 0x100, v30
	s_mov_b32 s13, -1
	s_delay_alu instid0(VALU_DEP_1)
	v_cmp_ne_u32_e32 vcc_lo, 0, v13
                                        ; implicit-def: $vgpr13_vgpr14
	s_and_saveexec_b32 s15, vcc_lo
	s_cbranch_execz .LBB4_777
; %bb.774:                              ;   in Loop: Header=BB4_754 Depth=3
	v_mad_co_u64_u32 v[15:16], null, v10, 24, v[6:7]
	s_delay_alu instid0(VALU_DEP_1) | instskip(NEXT) | instid1(VALU_DEP_1)
	v_mov_b32_e32 v13, v16
	v_mad_co_u64_u32 v[13:14], null, v11, 24, v[13:14]
	s_delay_alu instid0(VALU_DEP_1)
	v_mov_b32_e32 v16, v13
	flat_load_b32 v13, v[15:16]
	s_wait_loadcnt_dscnt 0x0
	v_cmp_eq_u32_e64 s13, 1, v13
	v_cmp_ne_u32_e32 vcc_lo, 1, v13
                                        ; implicit-def: $vgpr13_vgpr14
	s_wait_alu 0xfffe
	s_and_saveexec_b32 s16, s13
	s_cbranch_execz .LBB4_776
; %bb.775:                              ;   in Loop: Header=BB4_754 Depth=3
	flat_load_b32 v13, v[15:16] offset:4 scope:SCOPE_SYS
	s_wait_loadcnt_dscnt 0x0
	v_ashrrev_i32_e32 v14, 31, v13
.LBB4_776:                              ;   in Loop: Header=BB4_754 Depth=3
	s_wait_alu 0xfffe
	s_or_b32 exec_lo, exec_lo, s16
	s_delay_alu instid0(SALU_CYCLE_1)
	s_or_not1_b32 s13, vcc_lo, exec_lo
.LBB4_777:                              ;   in Loop: Header=BB4_754 Depth=3
	s_wait_alu 0xfffe
	s_or_b32 exec_lo, exec_lo, s15
	s_and_saveexec_b32 s15, s13
; %bb.778:                              ;   in Loop: Header=BB4_754 Depth=3
	v_mul_lo_u32 v11, v11, v100
	v_mul_lo_u32 v15, v10, v102
	v_mad_co_u64_u32 v[13:14], null, v10, v100, 0
	s_delay_alu instid0(VALU_DEP_1)
	v_add3_u32 v14, v14, v15, v11
; %bb.779:                              ;   in Loop: Header=BB4_754 Depth=3
	s_wait_alu 0xfffe
	s_or_b32 exec_lo, exec_lo, s15
	v_cmp_eq_u32_e32 vcc_lo, 0, v17
	v_and_b32_e32 v16, 0x2000, v30
	s_mov_b32 s13, exec_lo
	s_wait_alu 0xfffd
	v_cndmask_b32_e32 v15, 0xd0, v115, vcc_lo
	v_add_co_u32 v10, vcc_lo, v34, v13
	s_wait_alu 0xfffd
	v_add_co_ci_u32_e64 v11, null, v35, v14, vcc_lo
	s_delay_alu instid0(VALU_DEP_3)
	v_add_nc_u32_e32 v13, v0, v15
	ds_store_b64 v13, v[10:11] offset:584
	v_cmpx_ne_u32_e32 0, v16
	s_cbranch_execz .LBB4_781
; %bb.780:                              ;   in Loop: Header=BB4_754 Depth=3
	ds_load_b64 v[10:11], v0 offset:872
	s_wait_dscnt 0x0
	v_add_co_u32 v10, vcc_lo, v10, 1
	s_wait_alu 0xfffd
	v_add_co_ci_u32_e64 v11, null, 0, v11, vcc_lo
	ds_store_b64 v0, v[10:11] offset:872
.LBB4_781:                              ;   in Loop: Header=BB4_754 Depth=3
	s_wait_alu 0xfffe
	s_or_b32 exec_lo, exec_lo, s13
	v_dual_mov_b32 v65, v9 :: v_dual_mov_b32 v64, v8
.LBB4_782:                              ;   in Loop: Header=BB4_754 Depth=3
	s_wait_alu 0xfffe
	s_or_b32 exec_lo, exec_lo, s14
	s_and_saveexec_b32 s13, s2
	s_cbranch_execz .LBB4_801
; %bb.783:                              ;   in Loop: Header=BB4_754 Depth=3
	s_and_saveexec_b32 s14, s3
	s_wait_alu 0xfffe
	s_xor_b32 s14, exec_lo, s14
	s_cbranch_execz .LBB4_798
; %bb.784:                              ;   in Loop: Header=BB4_754 Depth=3
	s_and_saveexec_b32 s15, s6
	s_cbranch_execz .LBB4_797
; %bb.785:                              ;   in Loop: Header=BB4_754 Depth=3
	s_mov_b32 s17, exec_lo
	s_mov_b32 s16, exec_lo
	s_wait_alu 0xfffe
	v_mbcnt_lo_u32_b32 v8, s17, 0
	s_wait_storecnt 0x0
	s_wait_loadcnt_dscnt 0x0
	global_inv scope:SCOPE_DEV
	v_cmpx_eq_u32_e32 0, v8
	s_cbranch_execz .LBB4_787
; %bb.786:                              ;   in Loop: Header=BB4_754 Depth=3
	s_bcnt1_i32_b32 s17, s17
	s_wait_alu 0xfffe
	v_dual_mov_b32 v9, v2 :: v_dual_mov_b32 v8, s17
	s_wait_loadcnt 0x0
	ds_add_u64 v0, v[8:9]
	s_trap 2
.LBB4_787:                              ;   in Loop: Header=BB4_754 Depth=3
	s_or_b32 exec_lo, exec_lo, s16
	s_trap 2
	ds_load_b64 v[8:9], v0
	s_wait_dscnt 0x0
	global_inv scope:SCOPE_SE
	v_add_co_u32 v38, vcc_lo, v38, v103
	s_wait_alu 0xfffd
	v_add_co_ci_u32_e64 v39, null, 0, v39, vcc_lo
	s_mov_b32 s16, exec_lo
	v_cmpx_lt_u64_e64 v[8:9], v[38:39]
	s_cbranch_execz .LBB4_796
; %bb.788:                              ;   in Loop: Header=BB4_754 Depth=3
	s_mov_b32 s17, 0
	s_mov_b32 s25, 0
                                        ; implicit-def: $sgpr23
                                        ; implicit-def: $sgpr24
	s_branch .LBB4_790
.LBB4_789:                              ;   in Loop: Header=BB4_790 Depth=4
	s_wait_alu 0xfffe
	s_or_b32 exec_lo, exec_lo, s27
	s_delay_alu instid0(SALU_CYCLE_1)
	s_and_b32 s26, exec_lo, s28
	s_wait_alu 0xfffe
	s_or_b32 s17, s26, s17
	s_and_not1_b32 s23, s23, exec_lo
	s_and_b32 s26, s24, exec_lo
	s_wait_alu 0xfffe
	s_or_b32 s23, s23, s26
	s_and_not1_b32 exec_lo, exec_lo, s17
	s_cbranch_execz .LBB4_794
.LBB4_790:                              ;   Parent Loop BB4_47 Depth=1
                                        ;     Parent Loop BB4_751 Depth=2
                                        ;       Parent Loop BB4_754 Depth=3
                                        ; =>      This Inner Loop Header: Depth=4
	s_wait_alu 0xfffe
	s_add_co_i32 s25, s25, 1
	s_wait_alu 0xfffe
	s_cmp_lg_u32 s25, 0x2710
	s_cselect_b32 s26, -1, 0
	s_wait_alu 0xfffe
	s_and_b32 vcc_lo, exec_lo, s26
	s_wait_alu 0xfffe
	s_cbranch_vccz .LBB4_792
; %bb.791:                              ;   in Loop: Header=BB4_790 Depth=4
	s_mov_b32 s28, -1
	s_or_b32 s24, s24, exec_lo
	s_and_saveexec_b32 s27, s26
	s_cbranch_execz .LBB4_789
	s_branch .LBB4_793
.LBB4_792:                              ;   in Loop: Header=BB4_790 Depth=4
	s_trap 2
	ds_load_b64 v[8:9], v0
	s_and_not1_b32 s26, s26, exec_lo
	s_mov_b32 s25, 0
	s_wait_loadcnt_dscnt 0x0
	flat_load_b32 v8, v[8:9] scope:SCOPE_SYS
	s_wait_loadcnt_dscnt 0x0
	global_inv scope:SCOPE_SYS
	v_cmp_eq_u32_e32 vcc_lo, 0, v8
	s_and_b32 s27, vcc_lo, exec_lo
	s_wait_alu 0xfffe
	s_or_b32 s26, s26, s27
	s_mov_b32 s28, -1
	s_or_b32 s24, s24, exec_lo
	s_wait_alu 0xfffe
	s_and_saveexec_b32 s27, s26
	s_cbranch_execz .LBB4_789
.LBB4_793:                              ;   in Loop: Header=BB4_790 Depth=4
	s_sleep 1
	s_trap 2
	ds_load_b64 v[8:9], v0
	s_wait_dscnt 0x0
	global_inv scope:SCOPE_SE
	s_wait_alu 0xfffe
	s_and_not1_b32 s24, s24, exec_lo
	v_cmp_ge_u64_e32 vcc_lo, v[8:9], v[38:39]
	s_or_not1_b32 s28, vcc_lo, exec_lo
	s_branch .LBB4_789
.LBB4_794:                              ;   in Loop: Header=BB4_754 Depth=3
	s_or_b32 exec_lo, exec_lo, s17
	s_wait_alu 0xfffe
	s_and_saveexec_b32 s17, s23
	s_wait_alu 0xfffe
	s_xor_b32 s17, exec_lo, s17
	s_cbranch_execz .LBB4_796
; %bb.795:                              ;   in Loop: Header=BB4_754 Depth=3
	ds_store_b32 v0, v113
	s_trap 2
.LBB4_796:                              ;   in Loop: Header=BB4_754 Depth=3
	s_wait_alu 0xfffe
	s_or_b32 exec_lo, exec_lo, s16
	;;#ASMSTART
	s_wakeup
	;;#ASMEND
.LBB4_797:                              ;   in Loop: Header=BB4_754 Depth=3
	s_wait_alu 0xfffe
	s_or_b32 exec_lo, exec_lo, s15
.LBB4_798:                              ;   in Loop: Header=BB4_754 Depth=3
	s_wait_alu 0xfffe
	s_and_not1_saveexec_b32 s14, s14
	s_cbranch_execz .LBB4_800
; %bb.799:                              ;   in Loop: Header=BB4_754 Depth=3
	s_wait_storecnt 0x0
	s_wait_loadcnt_dscnt 0x0
	global_inv scope:SCOPE_DEV
	s_barrier_signal -1
	s_barrier_wait -1
.LBB4_800:                              ;   in Loop: Header=BB4_754 Depth=3
	s_wait_alu 0xfffe
	s_or_b32 exec_lo, exec_lo, s14
.LBB4_801:                              ;   in Loop: Header=BB4_754 Depth=3
	s_wait_alu 0xfffe
	s_or_b32 exec_lo, exec_lo, s13
	s_trap 2
	ds_load_b32 v8, v0
	v_and_b32_e32 v9, 0x4000, v30
	s_xor_b32 s13, s1, -1
	s_delay_alu instid0(VALU_DEP_1)
	v_cmp_ne_u32_e32 vcc_lo, 0, v9
	s_wait_alu 0xfffe
	s_and_b32 s14, s13, vcc_lo
	s_wait_alu 0xfffe
	s_and_saveexec_b32 s13, s14
	s_cbranch_execz .LBB4_820
; %bb.802:                              ;   in Loop: Header=BB4_754 Depth=3
	s_and_saveexec_b32 s14, s3
	s_wait_alu 0xfffe
	s_xor_b32 s14, exec_lo, s14
	s_cbranch_execz .LBB4_817
; %bb.803:                              ;   in Loop: Header=BB4_754 Depth=3
	s_and_saveexec_b32 s15, s6
	s_cbranch_execz .LBB4_816
; %bb.804:                              ;   in Loop: Header=BB4_754 Depth=3
	s_mov_b32 s17, exec_lo
	s_mov_b32 s16, exec_lo
	s_wait_alu 0xfffe
	v_mbcnt_lo_u32_b32 v9, s17, 0
	s_wait_storecnt 0x0
	s_wait_loadcnt_dscnt 0x0
	global_inv scope:SCOPE_DEV
	v_cmpx_eq_u32_e32 0, v9
	s_cbranch_execz .LBB4_806
; %bb.805:                              ;   in Loop: Header=BB4_754 Depth=3
	s_bcnt1_i32_b32 s17, s17
	s_wait_alu 0xfffe
	v_dual_mov_b32 v10, v2 :: v_dual_mov_b32 v9, s17
	s_wait_loadcnt 0x0
	ds_add_u64 v0, v[9:10]
	s_trap 2
.LBB4_806:                              ;   in Loop: Header=BB4_754 Depth=3
	s_or_b32 exec_lo, exec_lo, s16
	s_trap 2
	ds_load_b64 v[9:10], v0
	s_wait_dscnt 0x0
	global_inv scope:SCOPE_SE
	v_add_co_u32 v38, vcc_lo, v38, v103
	s_wait_alu 0xfffd
	v_add_co_ci_u32_e64 v39, null, 0, v39, vcc_lo
	s_mov_b32 s16, exec_lo
	v_cmpx_lt_u64_e64 v[9:10], v[38:39]
	s_cbranch_execz .LBB4_815
; %bb.807:                              ;   in Loop: Header=BB4_754 Depth=3
	s_mov_b32 s17, 0
	s_mov_b32 s25, 0
                                        ; implicit-def: $sgpr23
                                        ; implicit-def: $sgpr24
	s_branch .LBB4_809
.LBB4_808:                              ;   in Loop: Header=BB4_809 Depth=4
	s_wait_alu 0xfffe
	s_or_b32 exec_lo, exec_lo, s27
	s_delay_alu instid0(SALU_CYCLE_1)
	s_and_b32 s26, exec_lo, s28
	s_wait_alu 0xfffe
	s_or_b32 s17, s26, s17
	s_and_not1_b32 s23, s23, exec_lo
	s_and_b32 s26, s24, exec_lo
	s_wait_alu 0xfffe
	s_or_b32 s23, s23, s26
	s_and_not1_b32 exec_lo, exec_lo, s17
	s_cbranch_execz .LBB4_813
.LBB4_809:                              ;   Parent Loop BB4_47 Depth=1
                                        ;     Parent Loop BB4_751 Depth=2
                                        ;       Parent Loop BB4_754 Depth=3
                                        ; =>      This Inner Loop Header: Depth=4
	s_wait_alu 0xfffe
	s_add_co_i32 s25, s25, 1
	s_wait_alu 0xfffe
	s_cmp_lg_u32 s25, 0x2710
	s_cselect_b32 s26, -1, 0
	s_wait_alu 0xfffe
	s_and_b32 vcc_lo, exec_lo, s26
	s_wait_alu 0xfffe
	s_cbranch_vccz .LBB4_811
; %bb.810:                              ;   in Loop: Header=BB4_809 Depth=4
	s_mov_b32 s28, -1
	s_or_b32 s24, s24, exec_lo
	s_and_saveexec_b32 s27, s26
	s_cbranch_execz .LBB4_808
	s_branch .LBB4_812
.LBB4_811:                              ;   in Loop: Header=BB4_809 Depth=4
	s_trap 2
	ds_load_b64 v[9:10], v0
	s_and_not1_b32 s26, s26, exec_lo
	s_mov_b32 s25, 0
	s_wait_loadcnt_dscnt 0x0
	flat_load_b32 v9, v[9:10] scope:SCOPE_SYS
	s_wait_loadcnt_dscnt 0x0
	global_inv scope:SCOPE_SYS
	v_cmp_eq_u32_e32 vcc_lo, 0, v9
	s_and_b32 s27, vcc_lo, exec_lo
	s_wait_alu 0xfffe
	s_or_b32 s26, s26, s27
	s_mov_b32 s28, -1
	s_or_b32 s24, s24, exec_lo
	s_wait_alu 0xfffe
	s_and_saveexec_b32 s27, s26
	s_cbranch_execz .LBB4_808
.LBB4_812:                              ;   in Loop: Header=BB4_809 Depth=4
	s_sleep 1
	s_trap 2
	ds_load_b64 v[9:10], v0
	s_wait_dscnt 0x0
	global_inv scope:SCOPE_SE
	s_wait_alu 0xfffe
	s_and_not1_b32 s24, s24, exec_lo
	v_cmp_ge_u64_e32 vcc_lo, v[9:10], v[38:39]
	s_or_not1_b32 s28, vcc_lo, exec_lo
	s_branch .LBB4_808
.LBB4_813:                              ;   in Loop: Header=BB4_754 Depth=3
	s_or_b32 exec_lo, exec_lo, s17
	s_wait_alu 0xfffe
	s_and_saveexec_b32 s17, s23
	s_wait_alu 0xfffe
	s_xor_b32 s17, exec_lo, s17
	s_cbranch_execz .LBB4_815
; %bb.814:                              ;   in Loop: Header=BB4_754 Depth=3
	ds_store_b32 v0, v113
	s_trap 2
.LBB4_815:                              ;   in Loop: Header=BB4_754 Depth=3
	s_wait_alu 0xfffe
	s_or_b32 exec_lo, exec_lo, s16
	;;#ASMSTART
	s_wakeup
	;;#ASMEND
.LBB4_816:                              ;   in Loop: Header=BB4_754 Depth=3
	s_wait_alu 0xfffe
	s_or_b32 exec_lo, exec_lo, s15
.LBB4_817:                              ;   in Loop: Header=BB4_754 Depth=3
	s_wait_alu 0xfffe
	s_and_not1_saveexec_b32 s14, s14
	s_cbranch_execz .LBB4_819
; %bb.818:                              ;   in Loop: Header=BB4_754 Depth=3
	s_wait_storecnt 0x0
	s_wait_loadcnt_dscnt 0x0
	global_inv scope:SCOPE_DEV
	s_barrier_signal -1
	s_barrier_wait -1
.LBB4_819:                              ;   in Loop: Header=BB4_754 Depth=3
	s_wait_alu 0xfffe
	s_or_b32 exec_lo, exec_lo, s14
.LBB4_820:                              ;   in Loop: Header=BB4_754 Depth=3
	s_wait_alu 0xfffe
	s_or_b32 exec_lo, exec_lo, s13
	s_trap 2
	ds_load_b64 v[13:14], v0
	s_wait_dscnt 0x0
	v_cmp_eq_u64_e32 vcc_lo, 0, v[13:14]
	s_cbranch_vccnz .LBB4_829
; %bb.821:                              ;   in Loop: Header=BB4_754 Depth=3
	s_trap 2
	ds_load_b64 v[15:16], v0
	s_wait_dscnt 0x0
	v_cmp_eq_u64_e32 vcc_lo, 0, v[15:16]
	s_cbranch_vccnz .LBB4_829
; %bb.822:                              ;   in Loop: Header=BB4_754 Depth=3
	s_trap 2
	ds_load_b64 v[17:18], v0
	v_cmp_eq_u32_e64 s13, 0, v8
	s_wait_alu 0xf1ff
	s_delay_alu instid0(VALU_DEP_1)
	v_cndmask_b32_e64 v68, 0, v12, s13
	s_mov_b32 s13, -1
	s_wait_dscnt 0x0
	v_cmp_ne_u64_e32 vcc_lo, 0, v[17:18]
	s_cbranch_vccz .LBB4_860
; %bb.823:                              ;   in Loop: Header=BB4_754 Depth=3
	s_and_saveexec_b32 s14, s11
	s_cbranch_execz .LBB4_825
; %bb.824:                              ;   in Loop: Header=BB4_754 Depth=3
	ds_load_b32 v8, v0 offset:720
	s_wait_dscnt 0x0
	v_and_b32_e32 v8, 15, v8
	s_delay_alu instid0(VALU_DEP_1)
	v_cmp_eq_u32_e32 vcc_lo, 0, v8
	s_or_not1_b32 s13, vcc_lo, exec_lo
.LBB4_825:                              ;   in Loop: Header=BB4_754 Depth=3
	s_wait_alu 0xfffe
	s_or_b32 exec_lo, exec_lo, s14
	s_and_saveexec_b32 s14, s12
	s_cbranch_execz .LBB4_827
; %bb.826:                              ;   in Loop: Header=BB4_754 Depth=3
	ds_load_b32 v8, v0 offset:784
	s_wait_dscnt 0x0
	v_and_b32_e32 v8, 15, v8
	s_delay_alu instid0(VALU_DEP_1)
	v_cmp_eq_u32_e32 vcc_lo, 0, v8
	s_and_b32 s15, s13, vcc_lo
	s_and_not1_b32 s13, s13, exec_lo
	s_wait_alu 0xfffe
	s_and_b32 s15, s15, exec_lo
	s_wait_alu 0xfffe
	s_or_b32 s13, s13, s15
.LBB4_827:                              ;   in Loop: Header=BB4_754 Depth=3
	s_wait_alu 0xfffe
	s_or_b32 exec_lo, exec_lo, s14
	s_xor_b32 s13, s13, -1
	v_dual_mov_b32 v19, 0 :: v_dual_mov_b32 v20, v68
	s_wait_alu 0xfffe
	v_cndmask_b32_e64 v8, 0, 1, s13
	v_mov_b32_e32 v69, v0
	s_mov_b32 s13, -1
	s_delay_alu instid0(VALU_DEP_2)
	v_cmp_ne_u32_e32 vcc_lo, 0, v8
	v_mov_b32_e32 v8, v130
	s_cbranch_vccz .LBB4_834
; %bb.828:                              ;   in Loop: Header=BB4_754 Depth=3
	s_wait_alu 0xfffe
	s_and_saveexec_b32 s15, s13
	s_cbranch_execnz .LBB4_849
	s_branch .LBB4_859
.LBB4_829:                              ;   in Loop: Header=BB4_754 Depth=3
	s_mov_b32 s13, 0
	s_and_saveexec_b32 s14, s2
	s_cbranch_execnz .LBB4_890
.LBB4_830:                              ;   in Loop: Header=BB4_754 Depth=3
	s_wait_alu 0xfffe
	s_or_b32 exec_lo, exec_lo, s14
                                        ; implicit-def: $vgpr8
	s_and_saveexec_b32 s14, s10
	s_wait_alu 0xfffe
	s_xor_b32 s14, exec_lo, s14
	s_cbranch_execz .LBB4_908
.LBB4_831:                              ;   in Loop: Header=BB4_754 Depth=3
	v_and_b32_e32 v8, 16, v30
	s_delay_alu instid0(VALU_DEP_1)
	v_cmp_ne_u32_e32 vcc_lo, 0, v8
	v_and_b32_e32 v8, 16, v30
	s_and_b32 s15, vcc_lo, s13
	s_wait_alu 0xfffe
	s_and_saveexec_b32 s13, s15
	s_cbranch_execz .LBB4_833
; %bb.832:                              ;   in Loop: Header=BB4_754 Depth=3
	v_mov_b32_e32 v8, 1
	global_wb scope:SCOPE_SYS
	s_wait_storecnt 0x0
	s_wait_loadcnt_dscnt 0x0
	global_inv scope:SCOPE_SYS
.LBB4_833:                              ;   in Loop: Header=BB4_754 Depth=3
	s_wait_alu 0xfffe
	s_or_b32 exec_lo, exec_lo, s13
	s_and_not1_saveexec_b32 s13, s14
	s_cbranch_execz .LBB4_927
	s_branch .LBB4_909
.LBB4_834:                              ;   in Loop: Header=BB4_754 Depth=3
	v_ashrrev_i32_e32 v8, 31, v68
	s_mov_b32 s14, exec_lo
	s_delay_alu instid0(VALU_DEP_1) | instskip(NEXT) | instid1(VALU_DEP_1)
	v_lshrrev_b32_e32 v8, 22, v8
	v_add_nc_u32_e32 v8, v68, v8
	s_delay_alu instid0(VALU_DEP_1) | instskip(NEXT) | instid1(VALU_DEP_1)
	v_ashrrev_i32_e32 v69, 10, v8
	v_sub_nc_u32_e32 v71, v69, v130
	s_delay_alu instid0(VALU_DEP_1)
	v_cmpx_lt_i32_e32 0, v71
	s_cbranch_execz .LBB4_838
; %bb.835:                              ;   in Loop: Header=BB4_754 Depth=3
	v_add_co_u32 v8, vcc_lo, v13, v146
	s_wait_alu 0xfffd
	v_add_co_ci_u32_e64 v9, null, v14, v148, vcc_lo
	v_add_co_u32 v10, vcc_lo, v15, v146
	s_wait_alu 0xfffd
	v_add_co_ci_u32_e64 v11, null, v16, v148, vcc_lo
	;; [unrolled: 3-line block ×3, first 2 shown]
	s_mov_b32 s15, 0
.LBB4_836:                              ;   Parent Loop BB4_47 Depth=1
                                        ;     Parent Loop BB4_751 Depth=2
                                        ;       Parent Loop BB4_754 Depth=3
                                        ; =>      This Inner Loop Header: Depth=4
	s_clause 0x1
	global_load_b128 v[80:83], v[8:9], off th:TH_LOAD_NT
	global_load_b128 v[84:87], v[8:9], off offset:512 th:TH_LOAD_NT
	v_sub_nc_u32_e32 v71, v71, v103
	v_add_co_u32 v8, vcc_lo, v8, v118
	s_wait_alu 0xfffd
	v_add_co_ci_u32_e64 v9, null, 0, v9, vcc_lo
	s_delay_alu instid0(VALU_DEP_3)
	v_cmp_gt_i32_e32 vcc_lo, 1, v71
	s_wait_loadcnt 0x1
	global_store_b128 v[10:11], v[80:83], off th:TH_STORE_NT
	s_wait_loadcnt 0x0
	global_store_b128 v[10:11], v[84:87], off offset:512 th:TH_STORE_NT
	s_clause 0x1
	global_store_b128 v[19:20], v[80:83], off th:TH_STORE_NT
	global_store_b128 v[19:20], v[84:87], off offset:512 th:TH_STORE_NT
	v_add_co_u32 v10, s13, v10, v118
	s_wait_alu 0xf1fe
	v_add_co_ci_u32_e64 v11, null, 0, v11, s13
	v_add_co_u32 v19, s13, v19, v118
	s_wait_alu 0xf1ff
	v_add_co_ci_u32_e64 v20, null, 0, v20, s13
	s_or_b32 s15, vcc_lo, s15
	s_wait_alu 0xfffe
	s_and_not1_b32 exec_lo, exec_lo, s15
	s_cbranch_execnz .LBB4_836
; %bb.837:                              ;   in Loop: Header=BB4_754 Depth=3
	s_or_b32 exec_lo, exec_lo, s15
.LBB4_838:                              ;   in Loop: Header=BB4_754 Depth=3
	s_wait_alu 0xfffe
	s_or_b32 exec_lo, exec_lo, s14
	v_dual_mov_b32 v19, 0 :: v_dual_lshlrev_b32 v70, 10, v69
	s_mov_b32 s13, 0
	s_mov_b32 s23, exec_lo
                                        ; implicit-def: $vgpr20
                                        ; implicit-def: $vgpr69
                                        ; implicit-def: $vgpr8
	s_delay_alu instid0(VALU_DEP_1)
	v_cmpx_ne_u32_e64 v68, v70
	s_cbranch_execz .LBB4_848
; %bb.839:                              ;   in Loop: Header=BB4_754 Depth=3
	v_lshlrev_b32_e32 v8, 5, v71
	v_sub_nc_u32_e32 v10, v68, v70
	s_mov_b32 s24, exec_lo
	s_delay_alu instid0(VALU_DEP_2) | instskip(NEXT) | instid1(VALU_DEP_2)
	v_sub_nc_u32_e32 v8, v132, v8
	v_ashrrev_i32_e32 v11, 31, v10
	s_delay_alu instid0(VALU_DEP_2) | instskip(NEXT) | instid1(VALU_DEP_2)
	v_ashrrev_i32_e32 v9, 31, v8
	v_lshrrev_b32_e32 v11, 23, v11
	s_delay_alu instid0(VALU_DEP_2) | instskip(NEXT) | instid1(VALU_DEP_2)
	v_lshrrev_b32_e32 v9, 27, v9
	v_add_nc_u32_e32 v11, v10, v11
	s_delay_alu instid0(VALU_DEP_2) | instskip(NEXT) | instid1(VALU_DEP_2)
	v_add_nc_u32_e32 v9, v8, v9
	v_and_b32_e32 v71, 0xfffffe00, v11
	v_ashrrev_i32_e32 v11, 9, v11
	s_delay_alu instid0(VALU_DEP_3) | instskip(NEXT) | instid1(VALU_DEP_3)
	v_and_b32_e32 v19, 0xffffffe0, v9
	v_sub_nc_u32_e32 v81, v10, v71
	v_ashrrev_i32_e32 v9, 5, v9
	s_delay_alu instid0(VALU_DEP_3) | instskip(NEXT) | instid1(VALU_DEP_3)
	v_sub_nc_u32_e32 v80, v8, v19
	v_cmp_lt_i32_e64 s13, 15, v81
	s_delay_alu instid0(VALU_DEP_2) | instskip(SKIP_1) | instid1(VALU_DEP_2)
	v_lshlrev_b32_e32 v8, 4, v80
	s_wait_alu 0xf1fe
	v_add_co_ci_u32_e64 v11, null, 0, v11, s13
	s_delay_alu instid0(VALU_DEP_2) | instskip(NEXT) | instid1(VALU_DEP_2)
	v_lshl_add_u32 v8, v9, 9, v8
	v_sub_nc_u32_e32 v82, v11, v9
	s_delay_alu instid0(VALU_DEP_2) | instskip(NEXT) | instid1(VALU_DEP_1)
	v_sub_nc_u32_e32 v69, v10, v8
	v_cmpx_lt_i32_e32 15, v69
	s_cbranch_execz .LBB4_845
; %bb.840:                              ;   in Loop: Header=BB4_754 Depth=3
	v_add_nc_u32_e32 v8, v8, v70
	s_mov_b32 s25, 0
	s_delay_alu instid0(VALU_DEP_1) | instskip(SKIP_2) | instid1(VALU_DEP_2)
	v_ashrrev_i32_e32 v9, 31, v8
	v_add_co_u32 v19, vcc_lo, v8, v13
	s_wait_alu 0xfffd
	v_add_co_ci_u32_e64 v20, null, v9, v14, vcc_lo
	v_add_co_u32 v83, vcc_lo, v8, v15
	s_wait_alu 0xfffd
	v_add_co_ci_u32_e64 v84, null, v9, v16, vcc_lo
	;; [unrolled: 3-line block ×3, first 2 shown]
.LBB4_841:                              ;   Parent Loop BB4_47 Depth=1
                                        ;     Parent Loop BB4_751 Depth=2
                                        ;       Parent Loop BB4_754 Depth=3
                                        ; =>      This Loop Header: Depth=4
                                        ;           Child Loop BB4_842 Depth 5
	global_load_b128 v[8:11], v[19:20], off th:TH_LOAD_NT
	s_mov_b64 s[16:17], 0
	s_mov_b32 s26, -1
.LBB4_842:                              ;   Parent Loop BB4_47 Depth=1
                                        ;     Parent Loop BB4_751 Depth=2
                                        ;       Parent Loop BB4_754 Depth=3
                                        ;         Parent Loop BB4_841 Depth=4
                                        ; =>        This Inner Loop Header: Depth=5
	s_wait_alu 0xfffe
	s_cmp_eq_u32 s16, 1
	s_cselect_b32 vcc_lo, -1, 0
	s_cmp_eq_u32 s16, 0
	s_wait_alu 0xfffe
	v_dual_cndmask_b32 v97, v84, v86 :: v_dual_cndmask_b32 v96, v83, v85
	s_mov_b64 s[16:17], 1
	s_delay_alu instid0(VALU_DEP_1) | instskip(SKIP_1) | instid1(VALU_DEP_2)
	v_add_co_u32 v87, s14, 0x200, v96
	s_wait_alu 0xf1ff
	v_add_co_ci_u32_e64 v98, null, 0, v97, s14
	s_cselect_b32 s14, -1, 0
	s_and_b32 s15, exec_lo, s26
	v_dual_cndmask_b32 v85, v85, v87 :: v_dual_cndmask_b32 v86, v86, v98
	s_wait_alu 0xfffe
	v_cndmask_b32_e64 v84, v84, v98, s14
	v_cndmask_b32_e64 v83, v83, v87, s14
	s_mov_b32 s26, 0
	s_mov_b32 vcc_lo, s15
	s_wait_loadcnt 0x0
	global_store_b128 v[96:97], v[8:11], off th:TH_STORE_NT
	s_wait_alu 0xfffe
	s_cbranch_vccnz .LBB4_842
; %bb.843:                              ;   in Loop: Header=BB4_841 Depth=4
	v_sub_nc_u32_e32 v69, v69, v117
	v_add_co_u32 v83, vcc_lo, v83, v128
	s_wait_alu 0xfffd
	v_add_co_ci_u32_e64 v84, null, v84, v131, vcc_lo
	v_add_co_u32 v85, vcc_lo, v85, v128
	s_wait_alu 0xfffd
	v_add_co_ci_u32_e64 v86, null, v86, v131, vcc_lo
	v_cmp_gt_i32_e32 vcc_lo, 16, v69
	v_add_co_u32 v19, s14, v144, v19
	s_wait_alu 0xf1ff
	v_add_co_ci_u32_e64 v20, null, v145, v20, s14
	v_sub_nc_u32_e32 v82, v82, v103
	s_or_b32 s25, vcc_lo, s25
	s_wait_alu 0xfffe
	s_and_not1_b32 exec_lo, exec_lo, s25
	s_cbranch_execnz .LBB4_841
; %bb.844:                              ;   in Loop: Header=BB4_754 Depth=3
	s_or_b32 exec_lo, exec_lo, s25
.LBB4_845:                              ;   in Loop: Header=BB4_754 Depth=3
	s_delay_alu instid0(SALU_CYCLE_1) | instskip(SKIP_4) | instid1(VALU_DEP_2)
	s_or_b32 exec_lo, exec_lo, s24
	v_and_b32_e32 v9, 15, v68
	v_mov_b32_e32 v19, 0
	s_mov_b32 s14, 0
	s_mov_b32 s15, exec_lo
                                        ; implicit-def: $vgpr69
                                        ; implicit-def: $vgpr8
	v_cndmask_b32_e64 v20, v81, v9, s13
	s_delay_alu instid0(VALU_DEP_1)
	v_cmpx_ne_u32_e32 0, v20
	s_cbranch_execz .LBB4_847
; %bb.846:                              ;   in Loop: Header=BB4_754 Depth=3
	v_cmp_lt_i32_e32 vcc_lo, 0, v82
	v_sub_nc_u32_e32 v9, v81, v9
	s_mov_b32 s14, exec_lo
	s_wait_alu 0xfffd
	v_cndmask_b32_e32 v8, 0, v103, vcc_lo
	s_delay_alu instid0(VALU_DEP_2) | instskip(NEXT) | instid1(VALU_DEP_2)
	v_cndmask_b32_e64 v9, 0, v9, s13
	v_sub_nc_u32_e32 v8, v8, v82
	s_delay_alu instid0(VALU_DEP_2) | instskip(NEXT) | instid1(VALU_DEP_2)
	v_add3_u32 v19, v71, v70, v9
	v_lshl_add_u32 v69, v8, 5, v80
	s_delay_alu instid0(VALU_DEP_1) | instskip(NEXT) | instid1(VALU_DEP_1)
	v_ashrrev_i32_e32 v8, 31, v69
	v_lshrrev_b32_e32 v8, 27, v8
	s_delay_alu instid0(VALU_DEP_1) | instskip(NEXT) | instid1(VALU_DEP_1)
	v_add_nc_u32_e32 v8, v69, v8
	v_ashrrev_i32_e32 v8, 5, v8
.LBB4_847:                              ;   in Loop: Header=BB4_754 Depth=3
	s_wait_alu 0xfffe
	s_or_b32 exec_lo, exec_lo, s15
	s_delay_alu instid0(SALU_CYCLE_1)
	s_and_b32 s13, s14, exec_lo
.LBB4_848:                              ;   in Loop: Header=BB4_754 Depth=3
	s_wait_alu 0xfffe
	s_or_b32 exec_lo, exec_lo, s23
	s_and_saveexec_b32 s15, s13
	s_cbranch_execz .LBB4_859
.LBB4_849:                              ;   in Loop: Header=BB4_754 Depth=3
	v_ashrrev_i32_e32 v9, 31, v20
	s_mov_b32 s14, exec_lo
	s_delay_alu instid0(VALU_DEP_1) | instskip(NEXT) | instid1(VALU_DEP_1)
	v_lshrrev_b32_e32 v9, 23, v9
	v_add_nc_u32_e32 v9, v20, v9
	s_delay_alu instid0(VALU_DEP_1) | instskip(SKIP_1) | instid1(VALU_DEP_2)
	v_ashrrev_i32_e32 v80, 9, v9
	v_ashrrev_i32_e32 v9, 31, v69
	v_sub_nc_u32_e32 v70, v80, v8
	s_delay_alu instid0(VALU_DEP_2) | instskip(NEXT) | instid1(VALU_DEP_2)
	v_lshrrev_b32_e32 v71, 27, v9
	v_cmpx_lt_i32_e32 0, v70
	s_cbranch_execz .LBB4_853
; %bb.850:                              ;   in Loop: Header=BB4_754 Depth=3
	s_delay_alu instid0(VALU_DEP_2)
	v_add_nc_u32_e32 v9, v69, v71
	v_lshlrev_b32_e32 v8, 9, v8
	v_add_co_u32 v83, vcc_lo, 0x1e0, v13
	s_wait_alu 0xfffd
	v_add_co_ci_u32_e64 v84, null, 0, v14, vcc_lo
	v_and_b32_e32 v9, 0xffffffe0, v9
	s_mov_b32 s16, 0
	s_delay_alu instid0(VALU_DEP_1) | instskip(NEXT) | instid1(VALU_DEP_1)
	v_sub_nc_u32_e32 v9, v69, v9
	v_add3_u32 v81, v19, v9, v8
	s_delay_alu instid0(VALU_DEP_1) | instskip(SKIP_2) | instid1(VALU_DEP_2)
	v_ashrrev_i32_e32 v82, 31, v81
	v_add_co_u32 v8, vcc_lo, v81, v15
	s_wait_alu 0xfffd
	v_add_co_ci_u32_e64 v9, null, v82, v16, vcc_lo
	v_add_co_u32 v10, vcc_lo, v81, v17
	s_wait_alu 0xfffd
	v_add_co_ci_u32_e64 v11, null, v82, v18, vcc_lo
	;; [unrolled: 3-line block ×3, first 2 shown]
.LBB4_851:                              ;   Parent Loop BB4_47 Depth=1
                                        ;     Parent Loop BB4_751 Depth=2
                                        ;       Parent Loop BB4_754 Depth=3
                                        ; =>      This Inner Loop Header: Depth=4
	s_clause 0xf
	flat_load_u8 v81, v[17:18] offset:-480 th:TH_LOAD_NT
	flat_load_u8 v82, v[17:18] offset:-448 th:TH_LOAD_NT
	;; [unrolled: 1-line block ×15, first 2 shown]
	flat_load_u8 v163, v[17:18] th:TH_LOAD_NT
	v_sub_nc_u32_e32 v70, v70, v103
	v_add_co_u32 v17, vcc_lo, v17, v117
	s_wait_alu 0xfffd
	v_add_co_ci_u32_e64 v18, null, 0, v18, vcc_lo
	s_delay_alu instid0(VALU_DEP_3)
	v_cmp_gt_i32_e32 vcc_lo, 1, v70
	s_wait_loadcnt_dscnt 0xf0f
	flat_store_b8 v[8:9], v81 th:TH_STORE_NT
	s_wait_loadcnt_dscnt 0xe0f
	flat_store_b8 v[8:9], v82 offset:32 th:TH_STORE_NT
	s_wait_loadcnt_dscnt 0xd0f
	flat_store_b8 v[8:9], v83 offset:64 th:TH_STORE_NT
	;; [unrolled: 2-line block ×15, first 2 shown]
	s_clause 0xf
	flat_store_b8 v[10:11], v81 th:TH_STORE_NT
	flat_store_b8 v[10:11], v82 offset:32 th:TH_STORE_NT
	flat_store_b8 v[10:11], v83 offset:64 th:TH_STORE_NT
	;; [unrolled: 1-line block ×15, first 2 shown]
	v_add_co_u32 v8, s13, v8, v117
	s_wait_alu 0xf1ff
	v_add_co_ci_u32_e64 v9, null, 0, v9, s13
	v_add_co_u32 v10, s13, v10, v117
	s_wait_alu 0xf1ff
	v_add_co_ci_u32_e64 v11, null, 0, v11, s13
	s_wait_alu 0xfffe
	s_or_b32 s16, vcc_lo, s16
	s_wait_alu 0xfffe
	s_and_not1_b32 exec_lo, exec_lo, s16
	s_cbranch_execnz .LBB4_851
; %bb.852:                              ;   in Loop: Header=BB4_754 Depth=3
	s_or_b32 exec_lo, exec_lo, s16
.LBB4_853:                              ;   in Loop: Header=BB4_754 Depth=3
	s_wait_alu 0xfffe
	s_or_b32 exec_lo, exec_lo, s14
	v_lshlrev_b32_e32 v8, 9, v80
	s_delay_alu instid0(VALU_DEP_1)
	v_cmp_ne_u32_e32 vcc_lo, v20, v8
	s_and_b32 exec_lo, exec_lo, vcc_lo
	s_cbranch_execz .LBB4_859
; %bb.854:                              ;   in Loop: Header=BB4_754 Depth=3
	v_add_nc_u32_e32 v9, v69, v71
	v_lshlrev_b32_e32 v10, 5, v70
	s_delay_alu instid0(VALU_DEP_2) | instskip(NEXT) | instid1(VALU_DEP_1)
	v_and_b32_e32 v9, 0xffffffe0, v9
	v_sub_nc_u32_e32 v9, v69, v9
	s_delay_alu instid0(VALU_DEP_1) | instskip(NEXT) | instid1(VALU_DEP_1)
	v_sub_nc_u32_e32 v9, v9, v10
	v_add_nc_u32_e32 v8, v8, v9
	s_delay_alu instid0(VALU_DEP_1) | instskip(NEXT) | instid1(VALU_DEP_1)
	v_sub_nc_u32_e32 v10, v20, v8
	v_cmp_lt_i32_e32 vcc_lo, 0, v10
	s_and_b32 exec_lo, exec_lo, vcc_lo
	s_cbranch_execz .LBB4_859
; %bb.855:                              ;   in Loop: Header=BB4_754 Depth=3
	s_trap 2
	ds_load_b64 v[17:18], v0
	ds_load_b128 v[80:83], v0
	v_add_nc_u32_e32 v19, v8, v19
	s_mov_b32 s23, 0
	s_delay_alu instid0(VALU_DEP_1) | instskip(SKIP_3) | instid1(VALU_DEP_2)
	v_ashrrev_i32_e32 v20, 31, v19
	s_wait_dscnt 0x1
	v_add_co_u32 v8, vcc_lo, v17, v19
	s_wait_alu 0xfffd
	v_add_co_ci_u32_e64 v9, null, v18, v20, vcc_lo
	s_wait_dscnt 0x0
	v_add_co_u32 v11, vcc_lo, v80, v19
	s_wait_alu 0xfffd
	v_add_co_ci_u32_e64 v17, null, v81, v20, vcc_lo
	v_add_co_u32 v18, vcc_lo, v82, v19
	s_wait_alu 0xfffd
	v_add_co_ci_u32_e64 v19, null, v83, v20, vcc_lo
.LBB4_856:                              ;   Parent Loop BB4_47 Depth=1
                                        ;     Parent Loop BB4_751 Depth=2
                                        ;       Parent Loop BB4_754 Depth=3
                                        ; =>      This Loop Header: Depth=4
                                        ;           Child Loop BB4_857 Depth 5
	flat_load_u8 v20, v[8:9] th:TH_LOAD_NT
	s_mov_b64 s[16:17], 0
	s_mov_b32 s24, -1
.LBB4_857:                              ;   Parent Loop BB4_47 Depth=1
                                        ;     Parent Loop BB4_751 Depth=2
                                        ;       Parent Loop BB4_754 Depth=3
                                        ;         Parent Loop BB4_856 Depth=4
                                        ; =>        This Inner Loop Header: Depth=5
	s_wait_alu 0xfffe
	s_cmp_eq_u32 s16, 1
	s_cselect_b32 vcc_lo, -1, 0
	s_cmp_eq_u32 s16, 0
	s_wait_alu 0xfffe
	v_dual_cndmask_b32 v70, v17, v19 :: v_dual_cndmask_b32 v69, v11, v18
	s_mov_b64 s[16:17], 1
	s_delay_alu instid0(VALU_DEP_1) | instskip(SKIP_1) | instid1(VALU_DEP_2)
	v_add_co_u32 v71, s13, v69, 32
	s_wait_alu 0xf1ff
	v_add_co_ci_u32_e64 v80, null, 0, v70, s13
	s_cselect_b32 s13, -1, 0
	s_and_b32 s14, exec_lo, s24
	v_dual_cndmask_b32 v18, v18, v71 :: v_dual_cndmask_b32 v19, v19, v80
	s_wait_alu 0xfffe
	v_cndmask_b32_e64 v17, v17, v80, s13
	v_cndmask_b32_e64 v11, v11, v71, s13
	s_mov_b32 s24, 0
	s_mov_b32 vcc_lo, s14
	s_wait_loadcnt_dscnt 0x0
	flat_store_b8 v[69:70], v20 th:TH_STORE_NT
	s_wait_alu 0xfffe
	s_cbranch_vccnz .LBB4_857
; %bb.858:                              ;   in Loop: Header=BB4_856 Depth=4
	v_sub_nc_u32_e32 v10, v10, v112
	v_add_co_u32 v11, vcc_lo, v11, v119
	s_wait_alu 0xfffd
	v_add_co_ci_u32_e64 v17, null, v17, v129, vcc_lo
	v_add_co_u32 v18, vcc_lo, v18, v119
	s_wait_alu 0xfffd
	v_add_co_ci_u32_e64 v19, null, v19, v129, vcc_lo
	v_cmp_gt_i32_e32 vcc_lo, 1, v10
	v_add_co_u32 v8, s13, v133, v8
	s_wait_alu 0xf1ff
	v_add_co_ci_u32_e64 v9, null, v134, v9, s13
	s_or_b32 s23, vcc_lo, s23
	s_wait_alu 0xfffe
	s_and_not1_b32 exec_lo, exec_lo, s23
	s_cbranch_execnz .LBB4_856
.LBB4_859:                              ;   in Loop: Header=BB4_754 Depth=3
	s_wait_alu 0xfffe
	s_or_b32 exec_lo, exec_lo, s15
	s_mov_b32 s13, 0
.LBB4_860:                              ;   in Loop: Header=BB4_754 Depth=3
	s_wait_alu 0xfffe
	s_and_b32 vcc_lo, exec_lo, s13
	s_wait_alu 0xfffe
	s_cbranch_vccz .LBB4_889
; %bb.861:                              ;   in Loop: Header=BB4_754 Depth=3
	s_mov_b32 s13, -1
	s_and_saveexec_b32 s14, s11
	s_cbranch_execz .LBB4_863
; %bb.862:                              ;   in Loop: Header=BB4_754 Depth=3
	ds_load_b32 v8, v0 offset:720
	s_wait_dscnt 0x0
	v_and_b32_e32 v8, 15, v8
	s_delay_alu instid0(VALU_DEP_1)
	v_cmp_eq_u32_e32 vcc_lo, 0, v8
	s_or_not1_b32 s13, vcc_lo, exec_lo
.LBB4_863:                              ;   in Loop: Header=BB4_754 Depth=3
	s_wait_alu 0xfffe
	s_or_b32 exec_lo, exec_lo, s14
	s_and_saveexec_b32 s14, s7
	s_cbranch_execz .LBB4_865
; %bb.864:                              ;   in Loop: Header=BB4_754 Depth=3
	ds_load_b32 v8, v0 offset:784
	s_wait_dscnt 0x0
	v_and_b32_e32 v8, 15, v8
	s_delay_alu instid0(VALU_DEP_1)
	v_cmp_eq_u32_e32 vcc_lo, 0, v8
	s_and_b32 s15, s13, vcc_lo
	s_and_not1_b32 s13, s13, exec_lo
	s_wait_alu 0xfffe
	s_and_b32 s15, s15, exec_lo
	s_wait_alu 0xfffe
	s_or_b32 s13, s13, s15
.LBB4_865:                              ;   in Loop: Header=BB4_754 Depth=3
	s_wait_alu 0xfffe
	s_or_b32 exec_lo, exec_lo, s14
	s_xor_b32 s13, s13, -1
	v_dual_mov_b32 v10, 0 :: v_dual_mov_b32 v9, v0
	s_wait_alu 0xfffe
	v_cndmask_b32_e64 v8, 0, 1, s13
	s_mov_b32 s13, -1
	v_mov_b32_e32 v69, v130
	s_delay_alu instid0(VALU_DEP_2)
	v_cmp_ne_u32_e32 vcc_lo, 0, v8
	v_mov_b32_e32 v8, v68
	s_cbranch_vccz .LBB4_867
; %bb.866:                              ;   in Loop: Header=BB4_754 Depth=3
	s_wait_alu 0xfffe
	s_and_saveexec_b32 s14, s13
	s_cbranch_execnz .LBB4_880
	s_branch .LBB4_888
.LBB4_867:                              ;   in Loop: Header=BB4_754 Depth=3
	v_ashrrev_i32_e32 v8, 31, v68
	s_mov_b32 s14, exec_lo
	s_delay_alu instid0(VALU_DEP_1) | instskip(NEXT) | instid1(VALU_DEP_1)
	v_lshrrev_b32_e32 v8, 21, v8
	v_add_nc_u32_e32 v8, v68, v8
	s_delay_alu instid0(VALU_DEP_1) | instskip(NEXT) | instid1(VALU_DEP_1)
	v_ashrrev_i32_e32 v18, 11, v8
	v_sub_nc_u32_e32 v17, v18, v130
	s_delay_alu instid0(VALU_DEP_1)
	v_cmpx_lt_i32_e32 0, v17
	s_cbranch_execz .LBB4_871
; %bb.868:                              ;   in Loop: Header=BB4_754 Depth=3
	v_dual_mov_b32 v8, v15 :: v_dual_mov_b32 v9, v16
	v_dual_mov_b32 v10, v13 :: v_dual_mov_b32 v11, v14
	s_mov_b32 s15, 0
.LBB4_869:                              ;   Parent Loop BB4_47 Depth=1
                                        ;     Parent Loop BB4_751 Depth=2
                                        ;       Parent Loop BB4_754 Depth=3
                                        ; =>      This Inner Loop Header: Depth=4
	s_delay_alu instid0(VALU_DEP_1) | instskip(SKIP_1) | instid1(VALU_DEP_2)
	v_add_co_u32 v19, vcc_lo, v135, v10
	s_wait_alu 0xfffd
	v_add_co_ci_u32_e64 v20, null, v147, v11, vcc_lo
	v_sub_nc_u32_e32 v17, v17, v103
	s_clause 0x3
	global_load_b128 v[80:83], v[19:20], off th:TH_LOAD_NT
	global_load_b128 v[84:87], v[19:20], off offset:512 th:TH_LOAD_NT
	global_load_b128 v[96:99], v[19:20], off offset:1024 th:TH_LOAD_NT
	;; [unrolled: 1-line block ×3, first 2 shown]
	v_add_co_u32 v19, vcc_lo, v135, v8
	s_wait_alu 0xfffd
	v_add_co_ci_u32_e64 v20, null, v147, v9, vcc_lo
	v_add_co_u32 v10, vcc_lo, v10, v116
	s_wait_alu 0xfffd
	v_add_co_ci_u32_e64 v11, null, 0, v11, vcc_lo
	v_add_co_u32 v8, vcc_lo, v8, v116
	v_cmp_gt_i32_e64 s13, 1, v17
	s_wait_alu 0xfffd
	v_add_co_ci_u32_e64 v9, null, 0, v9, vcc_lo
	s_wait_loadcnt 0x3
	global_store_b128 v[19:20], v[80:83], off th:TH_STORE_NT
	s_wait_loadcnt 0x2
	global_store_b128 v[19:20], v[84:87], off offset:512 th:TH_STORE_NT
	s_wait_loadcnt 0x1
	global_store_b128 v[19:20], v[96:99], off offset:1024 th:TH_STORE_NT
	;; [unrolled: 2-line block ×3, first 2 shown]
	s_wait_alu 0xfffe
	s_or_b32 s15, s13, s15
	s_wait_alu 0xfffe
	s_and_not1_b32 exec_lo, exec_lo, s15
	s_cbranch_execnz .LBB4_869
; %bb.870:                              ;   in Loop: Header=BB4_754 Depth=3
	s_or_b32 exec_lo, exec_lo, s15
.LBB4_871:                              ;   in Loop: Header=BB4_754 Depth=3
	s_wait_alu 0xfffe
	s_or_b32 exec_lo, exec_lo, s14
	v_dual_mov_b32 v10, 0 :: v_dual_lshlrev_b32 v11, 11, v18
	s_mov_b32 s13, 0
	s_mov_b32 s15, exec_lo
                                        ; implicit-def: $vgpr8
                                        ; implicit-def: $vgpr9
                                        ; implicit-def: $vgpr69
	s_delay_alu instid0(VALU_DEP_1)
	v_cmpx_ne_u32_e64 v68, v11
	s_cbranch_execz .LBB4_879
; %bb.872:                              ;   in Loop: Header=BB4_754 Depth=3
	v_lshlrev_b32_e32 v8, 5, v17
	v_sub_nc_u32_e32 v10, v68, v11
	s_mov_b32 s16, exec_lo
	s_delay_alu instid0(VALU_DEP_2) | instskip(NEXT) | instid1(VALU_DEP_2)
	v_sub_nc_u32_e32 v8, v132, v8
	v_ashrrev_i32_e32 v17, 31, v10
	s_delay_alu instid0(VALU_DEP_2) | instskip(NEXT) | instid1(VALU_DEP_2)
	v_ashrrev_i32_e32 v9, 31, v8
	v_lshrrev_b32_e32 v17, 23, v17
	s_delay_alu instid0(VALU_DEP_2) | instskip(NEXT) | instid1(VALU_DEP_2)
	v_lshrrev_b32_e32 v9, 27, v9
	v_add_nc_u32_e32 v20, v10, v17
	s_delay_alu instid0(VALU_DEP_2) | instskip(NEXT) | instid1(VALU_DEP_2)
	v_add_nc_u32_e32 v9, v8, v9
	v_and_b32_e32 v17, 0xfffffe00, v20
	v_ashrrev_i32_e32 v20, 9, v20
	s_delay_alu instid0(VALU_DEP_3) | instskip(NEXT) | instid1(VALU_DEP_3)
	v_and_b32_e32 v18, 0xffffffe0, v9
	v_sub_nc_u32_e32 v19, v10, v17
	v_ashrrev_i32_e32 v69, 5, v9
	s_delay_alu instid0(VALU_DEP_3) | instskip(NEXT) | instid1(VALU_DEP_3)
	v_sub_nc_u32_e32 v18, v8, v18
	v_cmp_lt_i32_e32 vcc_lo, 15, v19
	s_delay_alu instid0(VALU_DEP_2) | instskip(SKIP_2) | instid1(VALU_DEP_2)
	v_lshlrev_b32_e32 v8, 4, v18
	s_wait_alu 0xfffd
	v_add_co_ci_u32_e64 v20, null, 0, v20, vcc_lo
	v_lshl_add_u32 v9, v69, 9, v8
	s_delay_alu instid0(VALU_DEP_2) | instskip(NEXT) | instid1(VALU_DEP_2)
	v_sub_nc_u32_e32 v20, v20, v69
	v_sub_nc_u32_e32 v8, v10, v9
	s_delay_alu instid0(VALU_DEP_1)
	v_cmpx_lt_i32_e32 15, v8
	s_cbranch_execz .LBB4_876
; %bb.873:                              ;   in Loop: Header=BB4_754 Depth=3
	v_add_nc_u32_e32 v9, v9, v11
	s_mov_b32 s17, 0
	s_delay_alu instid0(VALU_DEP_1)
	v_ashrrev_i32_e32 v10, 31, v9
.LBB4_874:                              ;   Parent Loop BB4_47 Depth=1
                                        ;     Parent Loop BB4_751 Depth=2
                                        ;       Parent Loop BB4_754 Depth=3
                                        ; =>      This Inner Loop Header: Depth=4
	v_add_co_u32 v69, s13, v13, v9
	s_wait_alu 0xf1fe
	s_delay_alu instid0(VALU_DEP_2)
	v_add_co_ci_u32_e64 v70, null, v14, v10, s13
	v_sub_nc_u32_e32 v8, v8, v117
	v_sub_nc_u32_e32 v20, v20, v103
	global_load_b128 v[80:83], v[69:70], off th:TH_LOAD_NT
	v_add_co_u32 v69, s13, v15, v9
	s_wait_alu 0xf1ff
	v_add_co_ci_u32_e64 v70, null, v16, v10, s13
	v_cmp_gt_i32_e64 s13, 16, v8
	v_add_co_u32 v9, s14, v9, v117
	s_wait_alu 0xf1ff
	v_add_co_ci_u32_e64 v10, null, 0, v10, s14
	s_or_b32 s17, s13, s17
	s_wait_loadcnt 0x0
	global_store_b128 v[69:70], v[80:83], off th:TH_STORE_NT
	s_wait_alu 0xfffe
	s_and_not1_b32 exec_lo, exec_lo, s17
	s_cbranch_execnz .LBB4_874
; %bb.875:                              ;   in Loop: Header=BB4_754 Depth=3
	s_or_b32 exec_lo, exec_lo, s17
.LBB4_876:                              ;   in Loop: Header=BB4_754 Depth=3
	s_wait_alu 0xfffe
	s_or_b32 exec_lo, exec_lo, s16
	v_and_b32_e32 v70, 15, v68
	v_mov_b32_e32 v10, 0
	s_mov_b32 s14, 0
	s_mov_b32 s16, exec_lo
                                        ; implicit-def: $vgpr9
                                        ; implicit-def: $vgpr69
	s_delay_alu instid0(VALU_DEP_2) | instskip(NEXT) | instid1(VALU_DEP_1)
	v_cndmask_b32_e32 v8, v19, v70, vcc_lo
	v_cmpx_ne_u32_e32 0, v8
	s_cbranch_execz .LBB4_878
; %bb.877:                              ;   in Loop: Header=BB4_754 Depth=3
	v_cmp_lt_i32_e64 s13, 0, v20
	s_mov_b32 s14, exec_lo
	s_wait_alu 0xf1ff
	v_cndmask_b32_e64 v9, 0, v103, s13
	s_delay_alu instid0(VALU_DEP_1) | instskip(NEXT) | instid1(VALU_DEP_1)
	v_sub_nc_u32_e32 v9, v9, v20
	v_lshl_add_u32 v9, v9, 5, v18
	v_sub_nc_u32_e32 v18, v19, v70
	s_delay_alu instid0(VALU_DEP_2) | instskip(NEXT) | instid1(VALU_DEP_2)
	v_ashrrev_i32_e32 v10, 31, v9
	v_cndmask_b32_e32 v18, 0, v18, vcc_lo
	s_delay_alu instid0(VALU_DEP_2) | instskip(NEXT) | instid1(VALU_DEP_1)
	v_lshrrev_b32_e32 v10, 27, v10
	v_add_nc_u32_e32 v19, v9, v10
	s_delay_alu instid0(VALU_DEP_3) | instskip(NEXT) | instid1(VALU_DEP_2)
	v_add3_u32 v10, v17, v11, v18
	v_ashrrev_i32_e32 v69, 5, v19
.LBB4_878:                              ;   in Loop: Header=BB4_754 Depth=3
	s_wait_alu 0xfffe
	s_or_b32 exec_lo, exec_lo, s16
	s_delay_alu instid0(SALU_CYCLE_1)
	s_and_b32 s13, s14, exec_lo
.LBB4_879:                              ;   in Loop: Header=BB4_754 Depth=3
	s_wait_alu 0xfffe
	s_or_b32 exec_lo, exec_lo, s15
	s_and_saveexec_b32 s14, s13
	s_cbranch_execz .LBB4_888
.LBB4_880:                              ;   in Loop: Header=BB4_754 Depth=3
	v_ashrrev_i32_e32 v11, 31, v8
	s_mov_b32 s13, exec_lo
	s_delay_alu instid0(VALU_DEP_1) | instskip(NEXT) | instid1(VALU_DEP_1)
	v_lshrrev_b32_e32 v11, 23, v11
	v_add_nc_u32_e32 v11, v8, v11
	s_delay_alu instid0(VALU_DEP_1) | instskip(NEXT) | instid1(VALU_DEP_1)
	v_ashrrev_i32_e32 v17, 9, v11
	v_sub_nc_u32_e32 v11, v17, v69
	s_delay_alu instid0(VALU_DEP_1)
	v_cmpx_lt_i32_e32 0, v11
	s_cbranch_execz .LBB4_884
; %bb.881:                              ;   in Loop: Header=BB4_754 Depth=3
	v_ashrrev_i32_e32 v18, 31, v9
	v_lshlrev_b32_e32 v19, 9, v69
	s_mov_b32 s15, 0
	s_delay_alu instid0(VALU_DEP_2) | instskip(NEXT) | instid1(VALU_DEP_1)
	v_lshrrev_b32_e32 v18, 27, v18
	v_add_nc_u32_e32 v18, v9, v18
	s_delay_alu instid0(VALU_DEP_1) | instskip(NEXT) | instid1(VALU_DEP_1)
	v_and_b32_e32 v18, 0xffffffe0, v18
	v_sub_nc_u32_e32 v18, v9, v18
	s_delay_alu instid0(VALU_DEP_1) | instskip(NEXT) | instid1(VALU_DEP_1)
	v_add3_u32 v18, v10, v18, v19
	v_ashrrev_i32_e32 v19, 31, v18
.LBB4_882:                              ;   Parent Loop BB4_47 Depth=1
                                        ;     Parent Loop BB4_751 Depth=2
                                        ;       Parent Loop BB4_754 Depth=3
                                        ; =>      This Inner Loop Header: Depth=4
	v_add_co_u32 v69, vcc_lo, v18, v13
	s_wait_alu 0xfffd
	s_delay_alu instid0(VALU_DEP_2)
	v_add_co_ci_u32_e64 v70, null, v19, v14, vcc_lo
	v_sub_nc_u32_e32 v11, v11, v103
	s_clause 0xf
	flat_load_u8 v20, v[69:70] th:TH_LOAD_NT
	flat_load_u8 v71, v[69:70] offset:32 th:TH_LOAD_NT
	flat_load_u8 v80, v[69:70] offset:64 th:TH_LOAD_NT
	;; [unrolled: 1-line block ×15, first 2 shown]
	v_add_co_u32 v69, vcc_lo, v18, v15
	s_wait_alu 0xfffd
	v_add_co_ci_u32_e64 v70, null, v19, v16, vcc_lo
	v_add_co_u32 v13, vcc_lo, v13, v117
	s_wait_alu 0xfffd
	v_add_co_ci_u32_e64 v14, null, 0, v14, vcc_lo
	;; [unrolled: 3-line block ×3, first 2 shown]
	v_cmp_gt_i32_e32 vcc_lo, 1, v11
	s_wait_loadcnt_dscnt 0xf0f
	flat_store_b8 v[69:70], v20 th:TH_STORE_NT
	s_wait_loadcnt_dscnt 0xe0f
	flat_store_b8 v[69:70], v71 offset:32 th:TH_STORE_NT
	s_wait_loadcnt_dscnt 0xd0f
	flat_store_b8 v[69:70], v80 offset:64 th:TH_STORE_NT
	s_wait_loadcnt_dscnt 0xc0f
	flat_store_b8 v[69:70], v81 offset:96 th:TH_STORE_NT
	s_wait_loadcnt_dscnt 0xb0f
	flat_store_b8 v[69:70], v82 offset:128 th:TH_STORE_NT
	s_wait_loadcnt_dscnt 0xa0f
	flat_store_b8 v[69:70], v83 offset:160 th:TH_STORE_NT
	s_wait_loadcnt_dscnt 0x90f
	flat_store_b8 v[69:70], v84 offset:192 th:TH_STORE_NT
	s_wait_loadcnt_dscnt 0x80f
	flat_store_b8 v[69:70], v85 offset:224 th:TH_STORE_NT
	s_wait_loadcnt_dscnt 0x70f
	flat_store_b8 v[69:70], v86 offset:256 th:TH_STORE_NT
	s_wait_loadcnt_dscnt 0x60f
	flat_store_b8 v[69:70], v87 offset:288 th:TH_STORE_NT
	s_wait_loadcnt_dscnt 0x50f
	flat_store_b8 v[69:70], v96 offset:320 th:TH_STORE_NT
	s_wait_loadcnt_dscnt 0x40f
	flat_store_b8 v[69:70], v97 offset:352 th:TH_STORE_NT
	s_wait_loadcnt_dscnt 0x30f
	flat_store_b8 v[69:70], v98 offset:384 th:TH_STORE_NT
	s_wait_loadcnt_dscnt 0x20f
	flat_store_b8 v[69:70], v99 offset:416 th:TH_STORE_NT
	s_wait_loadcnt_dscnt 0x10f
	flat_store_b8 v[69:70], v151 offset:448 th:TH_STORE_NT
	s_wait_loadcnt_dscnt 0xf
	flat_store_b8 v[69:70], v160 offset:480 th:TH_STORE_NT
	s_wait_alu 0xfffe
	s_or_b32 s15, vcc_lo, s15
	s_wait_alu 0xfffe
	s_and_not1_b32 exec_lo, exec_lo, s15
	s_cbranch_execnz .LBB4_882
; %bb.883:                              ;   in Loop: Header=BB4_754 Depth=3
	s_or_b32 exec_lo, exec_lo, s15
.LBB4_884:                              ;   in Loop: Header=BB4_754 Depth=3
	s_wait_alu 0xfffe
	s_or_b32 exec_lo, exec_lo, s13
	v_lshlrev_b32_e32 v13, 9, v17
	s_delay_alu instid0(VALU_DEP_1)
	v_cmp_ne_u32_e32 vcc_lo, v8, v13
	s_and_b32 exec_lo, exec_lo, vcc_lo
	s_cbranch_execz .LBB4_888
; %bb.885:                              ;   in Loop: Header=BB4_754 Depth=3
	v_ashrrev_i32_e32 v14, 31, v9
	v_lshlrev_b32_e32 v11, 5, v11
	s_delay_alu instid0(VALU_DEP_2) | instskip(NEXT) | instid1(VALU_DEP_1)
	v_lshrrev_b32_e32 v14, 27, v14
	v_add_nc_u32_e32 v14, v9, v14
	s_delay_alu instid0(VALU_DEP_1) | instskip(NEXT) | instid1(VALU_DEP_1)
	v_and_b32_e32 v14, 0xffffffe0, v14
	v_sub_nc_u32_e32 v9, v9, v14
	s_delay_alu instid0(VALU_DEP_1) | instskip(NEXT) | instid1(VALU_DEP_1)
	v_sub_nc_u32_e32 v9, v9, v11
	v_add_nc_u32_e32 v13, v13, v9
	s_delay_alu instid0(VALU_DEP_1) | instskip(NEXT) | instid1(VALU_DEP_1)
	v_sub_nc_u32_e32 v11, v8, v13
	v_cmp_lt_i32_e32 vcc_lo, 0, v11
	s_and_b32 exec_lo, exec_lo, vcc_lo
	s_cbranch_execz .LBB4_888
; %bb.886:                              ;   in Loop: Header=BB4_754 Depth=3
	s_trap 2
	ds_load_b64 v[8:9], v0
	v_add_nc_u32_e32 v10, v13, v10
	s_mov_b32 s15, 0
	s_delay_alu instid0(VALU_DEP_1)
	v_ashrrev_i32_e32 v13, 31, v10
.LBB4_887:                              ;   Parent Loop BB4_47 Depth=1
                                        ;     Parent Loop BB4_751 Depth=2
                                        ;       Parent Loop BB4_754 Depth=3
                                        ; =>      This Inner Loop Header: Depth=4
	s_wait_dscnt 0x0
	v_add_co_u32 v14, vcc_lo, v8, v10
	s_wait_alu 0xfffd
	s_delay_alu instid0(VALU_DEP_2)
	v_add_co_ci_u32_e64 v15, null, v9, v13, vcc_lo
	v_sub_nc_u32_e32 v11, v11, v112
	v_add_co_u32 v10, s13, v10, v112
	flat_load_u8 v16, v[14:15] th:TH_LOAD_NT
	s_wait_alu 0xf1ff
	v_add_co_ci_u32_e64 v13, null, 0, v13, s13
	v_cmp_gt_i32_e32 vcc_lo, 1, v11
	s_wait_alu 0xfffe
	s_or_b32 s15, vcc_lo, s15
	s_wait_loadcnt_dscnt 0x0
	flat_store_b8 v[14:15], v16 th:TH_STORE_NT
	s_wait_alu 0xfffe
	s_and_not1_b32 exec_lo, exec_lo, s15
	s_cbranch_execnz .LBB4_887
.LBB4_888:                              ;   in Loop: Header=BB4_754 Depth=3
	s_wait_alu 0xfffe
	s_or_b32 exec_lo, exec_lo, s14
.LBB4_889:                              ;   in Loop: Header=BB4_754 Depth=3
	v_cmp_lt_i32_e64 s13, 0, v68
	s_and_saveexec_b32 s14, s2
	s_cbranch_execz .LBB4_830
.LBB4_890:                              ;   in Loop: Header=BB4_754 Depth=3
	s_and_saveexec_b32 s15, s3
	s_wait_alu 0xfffe
	s_xor_b32 s15, exec_lo, s15
	s_cbranch_execz .LBB4_905
; %bb.891:                              ;   in Loop: Header=BB4_754 Depth=3
	s_and_saveexec_b32 s16, s6
	s_cbranch_execz .LBB4_904
; %bb.892:                              ;   in Loop: Header=BB4_754 Depth=3
	s_mov_b32 s23, exec_lo
	s_mov_b32 s17, exec_lo
	s_wait_alu 0xfffe
	v_mbcnt_lo_u32_b32 v8, s23, 0
	s_wait_storecnt 0x0
	s_wait_loadcnt_dscnt 0x0
	global_inv scope:SCOPE_DEV
	v_cmpx_eq_u32_e32 0, v8
	s_cbranch_execz .LBB4_894
; %bb.893:                              ;   in Loop: Header=BB4_754 Depth=3
	s_bcnt1_i32_b32 s23, s23
	s_wait_alu 0xfffe
	v_dual_mov_b32 v9, v2 :: v_dual_mov_b32 v8, s23
	s_wait_loadcnt 0x0
	ds_add_u64 v0, v[8:9]
	s_trap 2
.LBB4_894:                              ;   in Loop: Header=BB4_754 Depth=3
	s_or_b32 exec_lo, exec_lo, s17
	s_trap 2
	ds_load_b64 v[8:9], v0
	s_wait_dscnt 0x0
	global_inv scope:SCOPE_SE
	v_add_co_u32 v38, vcc_lo, v38, v103
	s_wait_alu 0xfffd
	v_add_co_ci_u32_e64 v39, null, 0, v39, vcc_lo
	s_mov_b32 s17, exec_lo
	v_cmpx_lt_u64_e64 v[8:9], v[38:39]
	s_cbranch_execz .LBB4_903
; %bb.895:                              ;   in Loop: Header=BB4_754 Depth=3
	s_mov_b32 s23, 0
	s_mov_b32 s26, 0
                                        ; implicit-def: $sgpr24
                                        ; implicit-def: $sgpr25
	s_branch .LBB4_897
.LBB4_896:                              ;   in Loop: Header=BB4_897 Depth=4
	s_wait_alu 0xfffe
	s_or_b32 exec_lo, exec_lo, s28
	s_delay_alu instid0(SALU_CYCLE_1)
	s_and_b32 s27, exec_lo, s29
	s_wait_alu 0xfffe
	s_or_b32 s23, s27, s23
	s_and_not1_b32 s24, s24, exec_lo
	s_and_b32 s27, s25, exec_lo
	s_wait_alu 0xfffe
	s_or_b32 s24, s24, s27
	s_and_not1_b32 exec_lo, exec_lo, s23
	s_cbranch_execz .LBB4_901
.LBB4_897:                              ;   Parent Loop BB4_47 Depth=1
                                        ;     Parent Loop BB4_751 Depth=2
                                        ;       Parent Loop BB4_754 Depth=3
                                        ; =>      This Inner Loop Header: Depth=4
	s_wait_alu 0xfffe
	s_add_co_i32 s26, s26, 1
	s_wait_alu 0xfffe
	s_cmp_lg_u32 s26, 0x2710
	s_cselect_b32 s27, -1, 0
	s_wait_alu 0xfffe
	s_and_b32 vcc_lo, exec_lo, s27
	s_wait_alu 0xfffe
	s_cbranch_vccz .LBB4_899
; %bb.898:                              ;   in Loop: Header=BB4_897 Depth=4
	s_mov_b32 s29, -1
	s_or_b32 s25, s25, exec_lo
	s_and_saveexec_b32 s28, s27
	s_cbranch_execz .LBB4_896
	s_branch .LBB4_900
.LBB4_899:                              ;   in Loop: Header=BB4_897 Depth=4
	s_trap 2
	ds_load_b64 v[8:9], v0
	s_and_not1_b32 s27, s27, exec_lo
	s_mov_b32 s26, 0
	s_wait_loadcnt_dscnt 0x0
	flat_load_b32 v8, v[8:9] scope:SCOPE_SYS
	s_wait_loadcnt_dscnt 0x0
	global_inv scope:SCOPE_SYS
	v_cmp_eq_u32_e32 vcc_lo, 0, v8
	s_and_b32 s28, vcc_lo, exec_lo
	s_wait_alu 0xfffe
	s_or_b32 s27, s27, s28
	s_mov_b32 s29, -1
	s_or_b32 s25, s25, exec_lo
	s_wait_alu 0xfffe
	s_and_saveexec_b32 s28, s27
	s_cbranch_execz .LBB4_896
.LBB4_900:                              ;   in Loop: Header=BB4_897 Depth=4
	s_sleep 1
	s_trap 2
	ds_load_b64 v[8:9], v0
	s_wait_dscnt 0x0
	global_inv scope:SCOPE_SE
	s_wait_alu 0xfffe
	s_and_not1_b32 s25, s25, exec_lo
	v_cmp_ge_u64_e32 vcc_lo, v[8:9], v[38:39]
	s_or_not1_b32 s29, vcc_lo, exec_lo
	s_branch .LBB4_896
.LBB4_901:                              ;   in Loop: Header=BB4_754 Depth=3
	s_or_b32 exec_lo, exec_lo, s23
	s_wait_alu 0xfffe
	s_and_saveexec_b32 s23, s24
	s_wait_alu 0xfffe
	s_xor_b32 s23, exec_lo, s23
	s_cbranch_execz .LBB4_903
; %bb.902:                              ;   in Loop: Header=BB4_754 Depth=3
	ds_store_b32 v0, v113
	s_trap 2
.LBB4_903:                              ;   in Loop: Header=BB4_754 Depth=3
	s_wait_alu 0xfffe
	s_or_b32 exec_lo, exec_lo, s17
	;;#ASMSTART
	s_wakeup
	;;#ASMEND
.LBB4_904:                              ;   in Loop: Header=BB4_754 Depth=3
	s_wait_alu 0xfffe
	s_or_b32 exec_lo, exec_lo, s16
.LBB4_905:                              ;   in Loop: Header=BB4_754 Depth=3
	s_wait_alu 0xfffe
	s_and_not1_saveexec_b32 s15, s15
	s_cbranch_execz .LBB4_907
; %bb.906:                              ;   in Loop: Header=BB4_754 Depth=3
	s_wait_storecnt 0x0
	s_wait_loadcnt_dscnt 0x0
	global_inv scope:SCOPE_DEV
	s_barrier_signal -1
	s_barrier_wait -1
.LBB4_907:                              ;   in Loop: Header=BB4_754 Depth=3
	s_wait_alu 0xfffe
	s_or_b32 exec_lo, exec_lo, s15
	s_delay_alu instid0(SALU_CYCLE_1)
	s_or_b32 exec_lo, exec_lo, s14
                                        ; implicit-def: $vgpr8
	s_and_saveexec_b32 s14, s10
	s_wait_alu 0xfffe
	s_xor_b32 s14, exec_lo, s14
	s_cbranch_execnz .LBB4_831
.LBB4_908:                              ;   in Loop: Header=BB4_754 Depth=3
	s_wait_alu 0xfffe
	s_and_not1_saveexec_b32 s13, s14
	s_cbranch_execz .LBB4_927
.LBB4_909:                              ;   in Loop: Header=BB4_754 Depth=3
	s_and_saveexec_b32 s14, s3
	s_wait_alu 0xfffe
	s_xor_b32 s14, exec_lo, s14
	s_cbranch_execz .LBB4_924
; %bb.910:                              ;   in Loop: Header=BB4_754 Depth=3
	s_and_saveexec_b32 s15, s6
	s_cbranch_execz .LBB4_923
; %bb.911:                              ;   in Loop: Header=BB4_754 Depth=3
	s_mov_b32 s17, exec_lo
	s_mov_b32 s16, exec_lo
	s_wait_alu 0xfffe
	v_mbcnt_lo_u32_b32 v8, s17, 0
	;;#ASMSTART
	s_waitcnt lgkmcnt(0) vmcnt(0)
	;;#ASMEND
	s_delay_alu instid0(VALU_DEP_1)
	v_cmpx_eq_u32_e32 0, v8
	s_cbranch_execz .LBB4_913
; %bb.912:                              ;   in Loop: Header=BB4_754 Depth=3
	s_bcnt1_i32_b32 s17, s17
	s_wait_alu 0xfffe
	v_dual_mov_b32 v9, v2 :: v_dual_mov_b32 v8, s17
	s_wait_storecnt 0x0
	s_wait_loadcnt_dscnt 0x0
	ds_add_u64 v0, v[8:9]
	s_trap 2
.LBB4_913:                              ;   in Loop: Header=BB4_754 Depth=3
	s_or_b32 exec_lo, exec_lo, s16
	s_trap 2
	ds_load_b64 v[8:9], v0
	s_wait_dscnt 0x0
	global_inv scope:SCOPE_SE
	v_add_co_u32 v38, vcc_lo, v38, v103
	s_wait_alu 0xfffd
	v_add_co_ci_u32_e64 v39, null, 0, v39, vcc_lo
	s_mov_b32 s16, exec_lo
	v_cmpx_lt_u64_e64 v[8:9], v[38:39]
	s_cbranch_execz .LBB4_922
; %bb.914:                              ;   in Loop: Header=BB4_754 Depth=3
	s_mov_b32 s17, 0
	s_mov_b32 s25, 0
                                        ; implicit-def: $sgpr23
                                        ; implicit-def: $sgpr24
	s_branch .LBB4_916
.LBB4_915:                              ;   in Loop: Header=BB4_916 Depth=4
	s_wait_alu 0xfffe
	s_or_b32 exec_lo, exec_lo, s27
	s_delay_alu instid0(SALU_CYCLE_1)
	s_and_b32 s26, exec_lo, s28
	s_wait_alu 0xfffe
	s_or_b32 s17, s26, s17
	s_and_not1_b32 s23, s23, exec_lo
	s_and_b32 s26, s24, exec_lo
	s_wait_alu 0xfffe
	s_or_b32 s23, s23, s26
	s_and_not1_b32 exec_lo, exec_lo, s17
	s_cbranch_execz .LBB4_920
.LBB4_916:                              ;   Parent Loop BB4_47 Depth=1
                                        ;     Parent Loop BB4_751 Depth=2
                                        ;       Parent Loop BB4_754 Depth=3
                                        ; =>      This Inner Loop Header: Depth=4
	s_wait_alu 0xfffe
	s_add_co_i32 s25, s25, 1
	s_wait_alu 0xfffe
	s_cmp_lg_u32 s25, 0x2710
	s_cselect_b32 s26, -1, 0
	s_wait_alu 0xfffe
	s_and_b32 vcc_lo, exec_lo, s26
	s_wait_alu 0xfffe
	s_cbranch_vccz .LBB4_918
; %bb.917:                              ;   in Loop: Header=BB4_916 Depth=4
	s_mov_b32 s28, -1
	s_or_b32 s24, s24, exec_lo
	s_and_saveexec_b32 s27, s26
	s_cbranch_execz .LBB4_915
	s_branch .LBB4_919
.LBB4_918:                              ;   in Loop: Header=BB4_916 Depth=4
	s_trap 2
	ds_load_b64 v[8:9], v0
	s_and_not1_b32 s26, s26, exec_lo
	s_mov_b32 s25, 0
	s_wait_storecnt 0x0
	s_wait_loadcnt_dscnt 0x0
	flat_load_b32 v8, v[8:9] scope:SCOPE_SYS
	s_wait_loadcnt_dscnt 0x0
	global_inv scope:SCOPE_SYS
	v_cmp_eq_u32_e32 vcc_lo, 0, v8
	s_and_b32 s27, vcc_lo, exec_lo
	s_wait_alu 0xfffe
	s_or_b32 s26, s26, s27
	s_mov_b32 s28, -1
	s_or_b32 s24, s24, exec_lo
	s_wait_alu 0xfffe
	s_and_saveexec_b32 s27, s26
	s_cbranch_execz .LBB4_915
.LBB4_919:                              ;   in Loop: Header=BB4_916 Depth=4
	s_sleep 1
	s_trap 2
	ds_load_b64 v[8:9], v0
	s_wait_dscnt 0x0
	global_inv scope:SCOPE_SE
	s_wait_alu 0xfffe
	s_and_not1_b32 s24, s24, exec_lo
	v_cmp_ge_u64_e32 vcc_lo, v[8:9], v[38:39]
	s_or_not1_b32 s28, vcc_lo, exec_lo
	s_branch .LBB4_915
.LBB4_920:                              ;   in Loop: Header=BB4_754 Depth=3
	s_or_b32 exec_lo, exec_lo, s17
	s_wait_alu 0xfffe
	s_and_saveexec_b32 s17, s23
	s_wait_alu 0xfffe
	s_xor_b32 s17, exec_lo, s17
	s_cbranch_execz .LBB4_922
; %bb.921:                              ;   in Loop: Header=BB4_754 Depth=3
	ds_store_b32 v0, v113
	s_trap 2
.LBB4_922:                              ;   in Loop: Header=BB4_754 Depth=3
	s_wait_alu 0xfffe
	s_or_b32 exec_lo, exec_lo, s16
	;;#ASMSTART
	s_wakeup
	;;#ASMEND
.LBB4_923:                              ;   in Loop: Header=BB4_754 Depth=3
	s_wait_alu 0xfffe
	s_or_b32 exec_lo, exec_lo, s15
.LBB4_924:                              ;   in Loop: Header=BB4_754 Depth=3
	s_wait_alu 0xfffe
	s_and_not1_saveexec_b32 s14, s14
	s_cbranch_execz .LBB4_926
; %bb.925:                              ;   in Loop: Header=BB4_754 Depth=3
	;;#ASMSTART
	s_waitcnt lgkmcnt(0) vmcnt(0)
	;;#ASMEND
	s_barrier_signal -1
	s_barrier_wait -1
.LBB4_926:                              ;   in Loop: Header=BB4_754 Depth=3
	s_wait_alu 0xfffe
	s_or_b32 exec_lo, exec_lo, s14
	v_and_b32_e32 v8, 16, v30
.LBB4_927:                              ;   in Loop: Header=BB4_754 Depth=3
	s_wait_alu 0xfffe
	s_or_b32 exec_lo, exec_lo, s13
	s_delay_alu instid0(VALU_DEP_1)
	v_cmp_ne_u32_e32 vcc_lo, 0, v8
	s_xor_b32 s13, s4, -1
	s_wait_alu 0xfffe
	s_and_b32 s14, vcc_lo, s13
	s_wait_alu 0xfffe
	s_and_saveexec_b32 s13, s14
	s_cbranch_execz .LBB4_929
; %bb.928:                              ;   in Loop: Header=BB4_754 Depth=3
	global_wb scope:SCOPE_SYS
	s_wait_storecnt 0x0
	s_wait_loadcnt_dscnt 0x0
	flat_store_b32 v[36:37], v113 scope:SCOPE_SYS
.LBB4_929:                              ;   in Loop: Header=BB4_754 Depth=3
	s_wait_alu 0xfffe
	s_or_b32 exec_lo, exec_lo, s13
	v_and_b32_e32 v8, 48, v30
	s_mov_b32 s13, exec_lo
	s_delay_alu instid0(VALU_DEP_1)
	v_cmpx_ne_u32_e32 0, v8
	s_cbranch_execz .LBB4_753
; %bb.930:                              ;   in Loop: Header=BB4_754 Depth=3
	v_add_co_u32 v64, vcc_lo, v64, 2
	s_wait_alu 0xfffd
	v_add_co_ci_u32_e64 v65, null, 0, v65, vcc_lo
	global_wb scope:SCOPE_SYS
	s_wait_storecnt 0x0
	s_wait_loadcnt_dscnt 0x0
	flat_store_b64 v[32:33], v[64:65] scope:SCOPE_SYS
	s_branch .LBB4_753
.LBB4_931:                              ;   in Loop: Header=BB4_751 Depth=2
	s_or_b32 exec_lo, exec_lo, s20
.LBB4_932:                              ;   in Loop: Header=BB4_751 Depth=2
	s_wait_alu 0xfffe
	s_or_b32 exec_lo, exec_lo, s19
	s_delay_alu instid0(SALU_CYCLE_1)
	s_mov_b32 s14, exec_lo
	v_cmpx_gt_i32_e32 2, v10
	s_cbranch_execz .LBB4_1008
; %bb.933:                              ;   in Loop: Header=BB4_751 Depth=2
	v_cmp_eq_u32_e64 s16, 0, v10
	s_mov_b32 s15, 0
	s_branch .LBB4_935
.LBB4_934:                              ;   in Loop: Header=BB4_935 Depth=3
	s_wait_alu 0xfffe
	s_or_b32 exec_lo, exec_lo, s13
	v_add_nc_u32_e32 v21, v12, v21
	s_mov_b32 s16, 0
	s_and_not1_b32 exec_lo, exec_lo, s15
	s_cbranch_execz .LBB4_1007
.LBB4_935:                              ;   Parent Loop BB4_47 Depth=1
                                        ;     Parent Loop BB4_751 Depth=2
                                        ; =>    This Loop Header: Depth=3
                                        ;         Child Loop BB4_941 Depth 4
                                        ;         Child Loop BB4_969 Depth 4
	;; [unrolled: 1-line block ×3, first 2 shown]
	s_delay_alu instid0(VALU_DEP_1) | instskip(SKIP_2) | instid1(VALU_DEP_2)
	v_sub_nc_u32_e32 v8, v3, v21
	v_and_b32_e32 v9, 12, v30
	s_mov_b32 s17, exec_lo
	v_min_i32_e32 v12, v12, v8
	s_delay_alu instid0(VALU_DEP_2)
	v_cmpx_ne_u32_e32 0, v9
	s_cbranch_execz .LBB4_961
; %bb.936:                              ;   in Loop: Header=BB4_935 Depth=3
	v_and_b32_e32 v17, 8, v30
	s_mov_b32 s19, exec_lo
	s_delay_alu instid0(VALU_DEP_1)
	v_add_co_u32 v10, vcc_lo, v48, v17
	s_wait_alu 0xfffd
	v_add_co_ci_u32_e64 v11, null, 0, v49, vcc_lo
	v_add_co_u32 v8, vcc_lo, v64, 2
	s_wait_alu 0xfffd
	v_add_co_ci_u32_e64 v9, null, 0, v65, vcc_lo
	s_delay_alu instid0(VALU_DEP_1)
	v_cmpx_lt_u64_e64 v[10:11], v[8:9]
	s_cbranch_execz .LBB4_948
; %bb.937:                              ;   in Loop: Header=BB4_935 Depth=3
	v_and_b32_e32 v10, 64, v30
	s_mov_b32 s20, 0
	s_mov_b32 s24, 0
                                        ; implicit-def: $sgpr21
                                        ; implicit-def: $sgpr22
                                        ; implicit-def: $sgpr23
	s_delay_alu instid0(VALU_DEP_1)
	v_cmp_eq_u32_e32 vcc_lo, 0, v10
	s_branch .LBB4_941
.LBB4_938:                              ;   in Loop: Header=BB4_941 Depth=4
	v_add_co_u32 v13, s13, v48, v17
	s_wait_alu 0xf1ff
	v_add_co_ci_u32_e64 v14, null, 0, v49, s13
	s_or_b32 s27, s27, exec_lo
	v_cmp_ge_u64_e64 s13, v[13:14], v[8:9]
	s_or_not1_b32 s26, s13, exec_lo
.LBB4_939:                              ;   in Loop: Header=BB4_941 Depth=4
	s_wait_alu 0xfffe
	s_or_b32 exec_lo, exec_lo, s29
	s_delay_alu instid0(SALU_CYCLE_1)
	s_and_not1_b32 s13, s23, exec_lo
	s_and_b32 s23, s27, exec_lo
	s_and_not1_b32 s22, s22, exec_lo
	s_and_b32 s26, s26, exec_lo
	s_wait_alu 0xfffe
	s_or_b32 s23, s13, s23
	s_or_b32 s22, s22, s26
.LBB4_940:                              ;   in Loop: Header=BB4_941 Depth=4
	s_wait_alu 0xfffe
	s_or_b32 exec_lo, exec_lo, s25
	s_delay_alu instid0(SALU_CYCLE_1)
	s_and_b32 s13, exec_lo, s22
	s_wait_alu 0xfffe
	s_or_b32 s20, s13, s20
	s_and_not1_b32 s13, s21, exec_lo
	s_and_b32 s21, s23, exec_lo
	s_wait_alu 0xfffe
	s_or_b32 s21, s13, s21
	s_and_not1_b32 exec_lo, exec_lo, s20
	s_cbranch_execz .LBB4_945
.LBB4_941:                              ;   Parent Loop BB4_47 Depth=1
                                        ;     Parent Loop BB4_751 Depth=2
                                        ;       Parent Loop BB4_935 Depth=3
                                        ; =>      This Inner Loop Header: Depth=4
	s_sleep 1
	flat_load_b64 v[48:49], v[32:33] scope:SCOPE_SYS
	s_wait_loadcnt_dscnt 0x0
	global_inv scope:SCOPE_SYS
	s_or_b32 s23, s23, exec_lo
	s_or_b32 s22, s22, exec_lo
                                        ; implicit-def: $vgpr10
	s_and_saveexec_b32 s25, vcc_lo
	s_cbranch_execz .LBB4_940
; %bb.942:                              ;   in Loop: Header=BB4_941 Depth=4
	s_wait_alu 0xfffe
	s_cmp_lt_i32 s24, 0x270f
	s_mov_b32 s26, -1
	s_cselect_b32 s28, -1, 0
	s_cmp_gt_i32 s24, 0x270e
	s_cbranch_scc0 .LBB4_944
; %bb.943:                              ;   in Loop: Header=BB4_941 Depth=4
	s_trap 2
	ds_load_b64 v[10:11], v0
	s_wait_alu 0xfffe
	s_and_not1_b32 s24, s28, exec_lo
	s_mov_b32 s27, 0
	s_wait_storecnt 0x0
	s_wait_loadcnt_dscnt 0x0
	flat_load_b32 v10, v[10:11] scope:SCOPE_SYS
	s_wait_loadcnt_dscnt 0x0
	global_inv scope:SCOPE_SYS
	v_cmp_eq_u32_e64 s13, 0, v10
	s_and_b32 s13, s13, exec_lo
	s_wait_alu 0xfffe
	s_or_b32 s28, s24, s13
	s_mov_b32 s24, 0
	s_wait_alu 0xfffe
	s_and_saveexec_b32 s29, s28
	s_cbranch_execz .LBB4_939
	s_branch .LBB4_938
.LBB4_944:                              ;   in Loop: Header=BB4_941 Depth=4
	s_add_co_i32 s24, s24, 1
	s_mov_b32 s27, -1
                                        ; implicit-def: $vgpr10
	s_wait_alu 0xfffe
	s_and_saveexec_b32 s29, s28
	s_cbranch_execz .LBB4_939
	s_branch .LBB4_938
.LBB4_945:                              ;   in Loop: Header=BB4_935 Depth=3
	s_or_b32 exec_lo, exec_lo, s20
	s_wait_alu 0xfffe
	s_xor_b32 s13, s21, -1
	s_wait_alu 0xfffe
	s_and_saveexec_b32 s20, s13
	s_wait_alu 0xfffe
	s_xor_b32 s13, exec_lo, s20
	s_cbranch_execz .LBB4_947
; %bb.946:                              ;   in Loop: Header=BB4_935 Depth=3
	v_or_b32_e32 v30, 64, v30
	s_wait_loadcnt 0x0
	s_wait_storecnt 0x0
	ds_store_b32 v0, v10
	s_trap 2
.LBB4_947:                              ;   in Loop: Header=BB4_935 Depth=3
	s_wait_alu 0xfffe
	s_or_b32 exec_lo, exec_lo, s13
.LBB4_948:                              ;   in Loop: Header=BB4_935 Depth=3
	s_wait_alu 0xfffe
	s_or_b32 exec_lo, exec_lo, s19
	v_and_b32_e32 v10, 0x108, v30
	;;#ASMSTART
	s_wakeup
	;;#ASMEND
	s_delay_alu instid0(VALU_DEP_1)
	v_cmp_ne_u32_e32 vcc_lo, 0x108, v10
                                        ; implicit-def: $vgpr10_vgpr11
	s_and_saveexec_b32 s13, vcc_lo
	s_wait_alu 0xfffe
	s_xor_b32 s13, exec_lo, s13
; %bb.949:                              ;   in Loop: Header=BB4_935 Depth=3
	v_dual_mov_b32 v11, v2 :: v_dual_and_b32 v10, 7, v64
                                        ; implicit-def: $vgpr64_vgpr65
; %bb.950:                              ;   in Loop: Header=BB4_935 Depth=3
	s_wait_alu 0xfffe
	s_and_not1_saveexec_b32 s13, s13
	s_cbranch_execz .LBB4_952
; %bb.951:                              ;   in Loop: Header=BB4_935 Depth=3
	v_dual_mov_b32 v11, v2 :: v_dual_and_b32 v10, 7, v64
	v_ashrrev_i32_e32 v13, 31, v12
	s_delay_alu instid0(VALU_DEP_2)
	v_mad_co_u64_u32 v[14:15], null, v10, 24, v[6:7]
	flat_store_b64 v[14:15], v[12:13] offset:8
.LBB4_952:                              ;   in Loop: Header=BB4_935 Depth=3
	s_wait_alu 0xfffe
	s_or_b32 exec_lo, exec_lo, s13
	v_and_b32_e32 v13, 0x100, v30
	s_mov_b32 s13, -1
	s_delay_alu instid0(VALU_DEP_1)
	v_cmp_ne_u32_e32 vcc_lo, 0, v13
                                        ; implicit-def: $vgpr13_vgpr14
	s_and_saveexec_b32 s19, vcc_lo
	s_cbranch_execz .LBB4_956
; %bb.953:                              ;   in Loop: Header=BB4_935 Depth=3
	v_mad_co_u64_u32 v[15:16], null, v10, 24, v[6:7]
	s_delay_alu instid0(VALU_DEP_1) | instskip(NEXT) | instid1(VALU_DEP_1)
	v_mov_b32_e32 v13, v16
	v_mad_co_u64_u32 v[13:14], null, v11, 24, v[13:14]
	s_delay_alu instid0(VALU_DEP_1)
	v_mov_b32_e32 v16, v13
	flat_load_b32 v13, v[15:16]
	s_wait_loadcnt_dscnt 0x0
	v_cmp_eq_u32_e64 s13, 1, v13
	v_cmp_ne_u32_e32 vcc_lo, 1, v13
                                        ; implicit-def: $vgpr13_vgpr14
	s_wait_alu 0xfffe
	s_and_saveexec_b32 s20, s13
	s_cbranch_execz .LBB4_955
; %bb.954:                              ;   in Loop: Header=BB4_935 Depth=3
	flat_load_b32 v13, v[15:16] offset:4 scope:SCOPE_SYS
	s_wait_loadcnt_dscnt 0x0
	v_ashrrev_i32_e32 v14, 31, v13
.LBB4_955:                              ;   in Loop: Header=BB4_935 Depth=3
	s_wait_alu 0xfffe
	s_or_b32 exec_lo, exec_lo, s20
	s_delay_alu instid0(SALU_CYCLE_1)
	s_or_not1_b32 s13, vcc_lo, exec_lo
.LBB4_956:                              ;   in Loop: Header=BB4_935 Depth=3
	s_wait_alu 0xfffe
	s_or_b32 exec_lo, exec_lo, s19
	s_and_saveexec_b32 s19, s13
; %bb.957:                              ;   in Loop: Header=BB4_935 Depth=3
	v_mul_lo_u32 v11, v11, v100
	v_mul_lo_u32 v15, v10, v102
	v_mad_co_u64_u32 v[13:14], null, v10, v100, 0
	s_delay_alu instid0(VALU_DEP_1)
	v_add3_u32 v14, v14, v15, v11
; %bb.958:                              ;   in Loop: Header=BB4_935 Depth=3
	s_wait_alu 0xfffe
	s_or_b32 exec_lo, exec_lo, s19
	v_cmp_eq_u32_e32 vcc_lo, 0, v17
	v_and_b32_e32 v16, 0x2000, v30
	s_mov_b32 s13, exec_lo
	s_wait_alu 0xfffd
	v_cndmask_b32_e32 v15, 0xd0, v115, vcc_lo
	v_add_co_u32 v10, vcc_lo, v34, v13
	s_wait_alu 0xfffd
	v_add_co_ci_u32_e64 v11, null, v35, v14, vcc_lo
	s_delay_alu instid0(VALU_DEP_3)
	v_add_nc_u32_e32 v13, v0, v15
	ds_store_b64 v13, v[10:11] offset:584
	v_cmpx_ne_u32_e32 0, v16
	s_cbranch_execz .LBB4_960
; %bb.959:                              ;   in Loop: Header=BB4_935 Depth=3
	ds_load_b64 v[10:11], v0 offset:872
	s_wait_dscnt 0x0
	v_add_co_u32 v10, vcc_lo, v10, 1
	s_wait_alu 0xfffd
	v_add_co_ci_u32_e64 v11, null, 0, v11, vcc_lo
	ds_store_b64 v0, v[10:11] offset:872
.LBB4_960:                              ;   in Loop: Header=BB4_935 Depth=3
	s_wait_alu 0xfffe
	s_or_b32 exec_lo, exec_lo, s13
	v_dual_mov_b32 v65, v9 :: v_dual_mov_b32 v64, v8
.LBB4_961:                              ;   in Loop: Header=BB4_935 Depth=3
	s_wait_alu 0xfffe
	s_or_b32 exec_lo, exec_lo, s17
	s_xor_b32 s13, s16, -1
	s_wait_alu 0xfffe
	s_and_b32 s13, exec_lo, s13
	s_wait_alu 0xfffe
	s_or_b32 s15, s13, s15
	s_and_saveexec_b32 s13, s2
	s_cbranch_execz .LBB4_980
; %bb.962:                              ;   in Loop: Header=BB4_935 Depth=3
	s_and_saveexec_b32 s16, s3
	s_wait_alu 0xfffe
	s_xor_b32 s16, exec_lo, s16
	s_cbranch_execz .LBB4_977
; %bb.963:                              ;   in Loop: Header=BB4_935 Depth=3
	s_and_saveexec_b32 s17, s6
	s_cbranch_execz .LBB4_976
; %bb.964:                              ;   in Loop: Header=BB4_935 Depth=3
	s_mov_b32 s20, exec_lo
	s_mov_b32 s19, exec_lo
	s_wait_alu 0xfffe
	v_mbcnt_lo_u32_b32 v8, s20, 0
	s_wait_storecnt 0x0
	s_wait_loadcnt_dscnt 0x0
	global_inv scope:SCOPE_DEV
	v_cmpx_eq_u32_e32 0, v8
	s_cbranch_execz .LBB4_966
; %bb.965:                              ;   in Loop: Header=BB4_935 Depth=3
	s_bcnt1_i32_b32 s20, s20
	s_wait_alu 0xfffe
	v_dual_mov_b32 v9, v2 :: v_dual_mov_b32 v8, s20
	s_wait_loadcnt 0x0
	ds_add_u64 v0, v[8:9]
	s_trap 2
.LBB4_966:                              ;   in Loop: Header=BB4_935 Depth=3
	s_or_b32 exec_lo, exec_lo, s19
	s_trap 2
	ds_load_b64 v[8:9], v0
	s_wait_dscnt 0x0
	global_inv scope:SCOPE_SE
	v_add_co_u32 v38, vcc_lo, v38, v103
	s_wait_alu 0xfffd
	v_add_co_ci_u32_e64 v39, null, 0, v39, vcc_lo
	s_mov_b32 s19, exec_lo
	v_cmpx_lt_u64_e64 v[8:9], v[38:39]
	s_cbranch_execz .LBB4_975
; %bb.967:                              ;   in Loop: Header=BB4_935 Depth=3
	s_mov_b32 s20, 0
	s_mov_b32 s23, 0
                                        ; implicit-def: $sgpr21
                                        ; implicit-def: $sgpr22
	s_branch .LBB4_969
.LBB4_968:                              ;   in Loop: Header=BB4_969 Depth=4
	s_wait_alu 0xfffe
	s_or_b32 exec_lo, exec_lo, s25
	s_delay_alu instid0(SALU_CYCLE_1)
	s_and_b32 s24, exec_lo, s26
	s_wait_alu 0xfffe
	s_or_b32 s20, s24, s20
	s_and_not1_b32 s21, s21, exec_lo
	s_and_b32 s24, s22, exec_lo
	s_wait_alu 0xfffe
	s_or_b32 s21, s21, s24
	s_and_not1_b32 exec_lo, exec_lo, s20
	s_cbranch_execz .LBB4_973
.LBB4_969:                              ;   Parent Loop BB4_47 Depth=1
                                        ;     Parent Loop BB4_751 Depth=2
                                        ;       Parent Loop BB4_935 Depth=3
                                        ; =>      This Inner Loop Header: Depth=4
	s_wait_alu 0xfffe
	s_add_co_i32 s23, s23, 1
	s_wait_alu 0xfffe
	s_cmp_lg_u32 s23, 0x2710
	s_cselect_b32 s24, -1, 0
	s_wait_alu 0xfffe
	s_and_b32 vcc_lo, exec_lo, s24
	s_wait_alu 0xfffe
	s_cbranch_vccz .LBB4_971
; %bb.970:                              ;   in Loop: Header=BB4_969 Depth=4
	s_mov_b32 s26, -1
	s_or_b32 s22, s22, exec_lo
	s_and_saveexec_b32 s25, s24
	s_cbranch_execz .LBB4_968
	s_branch .LBB4_972
.LBB4_971:                              ;   in Loop: Header=BB4_969 Depth=4
	s_trap 2
	ds_load_b64 v[8:9], v0
	s_and_not1_b32 s24, s24, exec_lo
	s_mov_b32 s23, 0
	s_wait_loadcnt_dscnt 0x0
	flat_load_b32 v8, v[8:9] scope:SCOPE_SYS
	s_wait_loadcnt_dscnt 0x0
	global_inv scope:SCOPE_SYS
	v_cmp_eq_u32_e32 vcc_lo, 0, v8
	s_and_b32 s25, vcc_lo, exec_lo
	s_wait_alu 0xfffe
	s_or_b32 s24, s24, s25
	s_mov_b32 s26, -1
	s_or_b32 s22, s22, exec_lo
	s_wait_alu 0xfffe
	s_and_saveexec_b32 s25, s24
	s_cbranch_execz .LBB4_968
.LBB4_972:                              ;   in Loop: Header=BB4_969 Depth=4
	s_sleep 1
	s_trap 2
	ds_load_b64 v[8:9], v0
	s_wait_dscnt 0x0
	global_inv scope:SCOPE_SE
	s_wait_alu 0xfffe
	s_and_not1_b32 s22, s22, exec_lo
	v_cmp_ge_u64_e32 vcc_lo, v[8:9], v[38:39]
	s_or_not1_b32 s26, vcc_lo, exec_lo
	s_branch .LBB4_968
.LBB4_973:                              ;   in Loop: Header=BB4_935 Depth=3
	s_or_b32 exec_lo, exec_lo, s20
	s_wait_alu 0xfffe
	s_and_saveexec_b32 s20, s21
	s_wait_alu 0xfffe
	s_xor_b32 s20, exec_lo, s20
	s_cbranch_execz .LBB4_975
; %bb.974:                              ;   in Loop: Header=BB4_935 Depth=3
	ds_store_b32 v0, v113
	s_trap 2
.LBB4_975:                              ;   in Loop: Header=BB4_935 Depth=3
	s_wait_alu 0xfffe
	s_or_b32 exec_lo, exec_lo, s19
	;;#ASMSTART
	s_wakeup
	;;#ASMEND
.LBB4_976:                              ;   in Loop: Header=BB4_935 Depth=3
	s_wait_alu 0xfffe
	s_or_b32 exec_lo, exec_lo, s17
.LBB4_977:                              ;   in Loop: Header=BB4_935 Depth=3
	s_wait_alu 0xfffe
	s_and_not1_saveexec_b32 s16, s16
	s_cbranch_execz .LBB4_979
; %bb.978:                              ;   in Loop: Header=BB4_935 Depth=3
	s_wait_storecnt 0x0
	s_wait_loadcnt_dscnt 0x0
	global_inv scope:SCOPE_DEV
	s_barrier_signal -1
	s_barrier_wait -1
.LBB4_979:                              ;   in Loop: Header=BB4_935 Depth=3
	s_wait_alu 0xfffe
	s_or_b32 exec_lo, exec_lo, s16
.LBB4_980:                              ;   in Loop: Header=BB4_935 Depth=3
	s_wait_alu 0xfffe
	s_or_b32 exec_lo, exec_lo, s13
                                        ; implicit-def: $vgpr8
	s_and_saveexec_b32 s13, s10
	s_wait_alu 0xfffe
	s_xor_b32 s16, exec_lo, s13
	s_cbranch_execz .LBB4_984
; %bb.981:                              ;   in Loop: Header=BB4_935 Depth=3
	s_trap 2
	ds_load_b32 v8, v0
	v_cmp_lt_i32_e32 vcc_lo, 0, v12
	s_wait_dscnt 0x0
	v_readfirstlane_b32 s13, v8
	v_and_b32_e32 v8, 16, v30
	s_cmp_eq_u32 s13, 0
	s_delay_alu instid0(VALU_DEP_1)
	v_cmp_ne_u32_e64 s13, 0, v8
	s_cselect_b32 s17, -1, 0
	v_and_b32_e32 v8, 16, v30
	s_wait_alu 0xfffe
	s_and_b32 s17, vcc_lo, s17
	s_wait_alu 0xfffe
	s_and_b32 s17, s13, s17
	s_wait_alu 0xfffe
	s_and_saveexec_b32 s13, s17
	s_cbranch_execz .LBB4_983
; %bb.982:                              ;   in Loop: Header=BB4_935 Depth=3
	v_mov_b32_e32 v8, 1
	global_wb scope:SCOPE_SYS
	s_wait_loadcnt 0x0
	s_wait_storecnt 0x0
	global_inv scope:SCOPE_SYS
.LBB4_983:                              ;   in Loop: Header=BB4_935 Depth=3
	s_wait_alu 0xfffe
	s_or_b32 exec_lo, exec_lo, s13
	s_and_not1_saveexec_b32 s13, s16
	s_cbranch_execz .LBB4_1003
	s_branch .LBB4_985
.LBB4_984:                              ;   in Loop: Header=BB4_935 Depth=3
	s_wait_alu 0xfffe
	s_and_not1_saveexec_b32 s13, s16
	s_cbranch_execz .LBB4_1003
.LBB4_985:                              ;   in Loop: Header=BB4_935 Depth=3
	s_and_saveexec_b32 s16, s3
	s_wait_alu 0xfffe
	s_xor_b32 s16, exec_lo, s16
	s_cbranch_execz .LBB4_1000
; %bb.986:                              ;   in Loop: Header=BB4_935 Depth=3
	s_and_saveexec_b32 s17, s6
	s_cbranch_execz .LBB4_999
; %bb.987:                              ;   in Loop: Header=BB4_935 Depth=3
	s_mov_b32 s20, exec_lo
	s_mov_b32 s19, exec_lo
	s_wait_alu 0xfffe
	v_mbcnt_lo_u32_b32 v8, s20, 0
	;;#ASMSTART
	s_waitcnt lgkmcnt(0) vmcnt(0)
	;;#ASMEND
	s_delay_alu instid0(VALU_DEP_1)
	v_cmpx_eq_u32_e32 0, v8
	s_cbranch_execz .LBB4_989
; %bb.988:                              ;   in Loop: Header=BB4_935 Depth=3
	s_bcnt1_i32_b32 s20, s20
	s_wait_alu 0xfffe
	v_dual_mov_b32 v9, v2 :: v_dual_mov_b32 v8, s20
	s_wait_storecnt 0x0
	s_wait_loadcnt_dscnt 0x0
	ds_add_u64 v0, v[8:9]
	s_trap 2
.LBB4_989:                              ;   in Loop: Header=BB4_935 Depth=3
	s_or_b32 exec_lo, exec_lo, s19
	s_trap 2
	ds_load_b64 v[8:9], v0
	s_wait_dscnt 0x0
	global_inv scope:SCOPE_SE
	v_add_co_u32 v38, vcc_lo, v38, v103
	s_wait_alu 0xfffd
	v_add_co_ci_u32_e64 v39, null, 0, v39, vcc_lo
	s_mov_b32 s19, exec_lo
	v_cmpx_lt_u64_e64 v[8:9], v[38:39]
	s_cbranch_execz .LBB4_998
; %bb.990:                              ;   in Loop: Header=BB4_935 Depth=3
	s_mov_b32 s20, 0
	s_mov_b32 s23, 0
                                        ; implicit-def: $sgpr21
                                        ; implicit-def: $sgpr22
	s_branch .LBB4_992
.LBB4_991:                              ;   in Loop: Header=BB4_992 Depth=4
	s_wait_alu 0xfffe
	s_or_b32 exec_lo, exec_lo, s25
	s_delay_alu instid0(SALU_CYCLE_1)
	s_and_b32 s24, exec_lo, s26
	s_wait_alu 0xfffe
	s_or_b32 s20, s24, s20
	s_and_not1_b32 s21, s21, exec_lo
	s_and_b32 s24, s22, exec_lo
	s_wait_alu 0xfffe
	s_or_b32 s21, s21, s24
	s_and_not1_b32 exec_lo, exec_lo, s20
	s_cbranch_execz .LBB4_996
.LBB4_992:                              ;   Parent Loop BB4_47 Depth=1
                                        ;     Parent Loop BB4_751 Depth=2
                                        ;       Parent Loop BB4_935 Depth=3
                                        ; =>      This Inner Loop Header: Depth=4
	s_wait_alu 0xfffe
	s_add_co_i32 s23, s23, 1
	s_wait_alu 0xfffe
	s_cmp_lg_u32 s23, 0x2710
	s_cselect_b32 s24, -1, 0
	s_wait_alu 0xfffe
	s_and_b32 vcc_lo, exec_lo, s24
	s_wait_alu 0xfffe
	s_cbranch_vccz .LBB4_994
; %bb.993:                              ;   in Loop: Header=BB4_992 Depth=4
	s_mov_b32 s26, -1
	s_or_b32 s22, s22, exec_lo
	s_and_saveexec_b32 s25, s24
	s_cbranch_execz .LBB4_991
	s_branch .LBB4_995
.LBB4_994:                              ;   in Loop: Header=BB4_992 Depth=4
	s_trap 2
	ds_load_b64 v[8:9], v0
	s_and_not1_b32 s24, s24, exec_lo
	s_mov_b32 s23, 0
	s_wait_storecnt 0x0
	s_wait_loadcnt_dscnt 0x0
	flat_load_b32 v8, v[8:9] scope:SCOPE_SYS
	s_wait_loadcnt_dscnt 0x0
	global_inv scope:SCOPE_SYS
	v_cmp_eq_u32_e32 vcc_lo, 0, v8
	s_and_b32 s25, vcc_lo, exec_lo
	s_wait_alu 0xfffe
	s_or_b32 s24, s24, s25
	s_mov_b32 s26, -1
	s_or_b32 s22, s22, exec_lo
	s_wait_alu 0xfffe
	s_and_saveexec_b32 s25, s24
	s_cbranch_execz .LBB4_991
.LBB4_995:                              ;   in Loop: Header=BB4_992 Depth=4
	s_sleep 1
	s_trap 2
	ds_load_b64 v[8:9], v0
	s_wait_dscnt 0x0
	global_inv scope:SCOPE_SE
	s_wait_alu 0xfffe
	s_and_not1_b32 s22, s22, exec_lo
	v_cmp_ge_u64_e32 vcc_lo, v[8:9], v[38:39]
	s_or_not1_b32 s26, vcc_lo, exec_lo
	s_branch .LBB4_991
.LBB4_996:                              ;   in Loop: Header=BB4_935 Depth=3
	s_or_b32 exec_lo, exec_lo, s20
	s_wait_alu 0xfffe
	s_and_saveexec_b32 s20, s21
	s_wait_alu 0xfffe
	s_xor_b32 s20, exec_lo, s20
	s_cbranch_execz .LBB4_998
; %bb.997:                              ;   in Loop: Header=BB4_935 Depth=3
	ds_store_b32 v0, v113
	s_trap 2
.LBB4_998:                              ;   in Loop: Header=BB4_935 Depth=3
	s_wait_alu 0xfffe
	s_or_b32 exec_lo, exec_lo, s19
	;;#ASMSTART
	s_wakeup
	;;#ASMEND
.LBB4_999:                              ;   in Loop: Header=BB4_935 Depth=3
	s_wait_alu 0xfffe
	s_or_b32 exec_lo, exec_lo, s17
.LBB4_1000:                             ;   in Loop: Header=BB4_935 Depth=3
	s_wait_alu 0xfffe
	s_and_not1_saveexec_b32 s16, s16
	s_cbranch_execz .LBB4_1002
; %bb.1001:                             ;   in Loop: Header=BB4_935 Depth=3
	;;#ASMSTART
	s_waitcnt lgkmcnt(0) vmcnt(0)
	;;#ASMEND
	s_barrier_signal -1
	s_barrier_wait -1
.LBB4_1002:                             ;   in Loop: Header=BB4_935 Depth=3
	s_wait_alu 0xfffe
	s_or_b32 exec_lo, exec_lo, s16
	v_and_b32_e32 v8, 16, v30
.LBB4_1003:                             ;   in Loop: Header=BB4_935 Depth=3
	s_wait_alu 0xfffe
	s_or_b32 exec_lo, exec_lo, s13
	s_delay_alu instid0(VALU_DEP_1)
	v_cmp_ne_u32_e32 vcc_lo, 0, v8
	s_xor_b32 s13, s4, -1
	s_wait_alu 0xfffe
	s_and_b32 s16, vcc_lo, s13
	s_wait_alu 0xfffe
	s_and_saveexec_b32 s13, s16
	s_cbranch_execz .LBB4_1005
; %bb.1004:                             ;   in Loop: Header=BB4_935 Depth=3
	global_wb scope:SCOPE_SYS
	s_wait_storecnt 0x0
	s_wait_loadcnt_dscnt 0x0
	flat_store_b32 v[36:37], v113 scope:SCOPE_SYS
.LBB4_1005:                             ;   in Loop: Header=BB4_935 Depth=3
	s_wait_alu 0xfffe
	s_or_b32 exec_lo, exec_lo, s13
	v_and_b32_e32 v8, 48, v30
	s_mov_b32 s13, exec_lo
	s_delay_alu instid0(VALU_DEP_1)
	v_cmpx_ne_u32_e32 0, v8
	s_cbranch_execz .LBB4_934
; %bb.1006:                             ;   in Loop: Header=BB4_935 Depth=3
	v_add_co_u32 v64, vcc_lo, v64, 2
	s_wait_alu 0xfffd
	v_add_co_ci_u32_e64 v65, null, 0, v65, vcc_lo
	global_wb scope:SCOPE_SYS
	s_wait_storecnt 0x0
	s_wait_loadcnt_dscnt 0x0
	flat_store_b64 v[32:33], v[64:65] scope:SCOPE_SYS
	s_branch .LBB4_934
.LBB4_1007:                             ;   in Loop: Header=BB4_751 Depth=2
	s_or_b32 exec_lo, exec_lo, s15
.LBB4_1008:                             ;   in Loop: Header=BB4_751 Depth=2
	s_wait_alu 0xfffe
	s_or_b32 exec_lo, exec_lo, s14
	s_add_co_i32 s13, s18, 1
	s_cmp_eq_u32 s18, s95
	s_cbranch_scc1 .LBB4_1010
; %bb.1009:                             ;   in Loop: Header=BB4_751 Depth=2
	s_wait_alu 0xfffe
	s_mov_b32 s18, s13
	s_branch .LBB4_751
.LBB4_1010:                             ;   in Loop: Header=BB4_47 Depth=1
	v_mul_lo_u32 v3, v55, s30
	v_mul_lo_u32 v10, v54, s35
	v_mad_co_u64_u32 v[8:9], null, v54, s30, 0
	v_mov_b32_e32 v17, 0
	s_delay_alu instid0(VALU_DEP_2) | instskip(NEXT) | instid1(VALU_DEP_3)
	v_add3_u32 v9, v9, v10, v3
	v_sub_co_u32 v10, vcc_lo, v66, v8
	s_wait_alu 0xfffd
	s_delay_alu instid0(VALU_DEP_2) | instskip(NEXT) | instid1(VALU_DEP_1)
	v_sub_co_ci_u32_e64 v11, null, v67, v9, vcc_lo
	v_cmp_lt_i64_e32 vcc_lo, v[54:55], v[10:11]
	s_wait_alu 0xfffd
	v_cndmask_b32_e32 v11, v10, v54, vcc_lo
	s_delay_alu instid0(VALU_DEP_1) | instskip(NEXT) | instid1(VALU_DEP_1)
	v_max_i32_e32 v3, 0, v11
	v_add_nc_u32_e32 v10, 31, v3
	v_cmp_lt_i32_e32 vcc_lo, 0, v11
	s_delay_alu instid0(VALU_DEP_2) | instskip(SKIP_1) | instid1(VALU_DEP_1)
	v_lshrrev_b32_e32 v10, 1, v10
	s_and_b32 s13, vcc_hi, vcc_lo
	v_and_b32_e32 v12, 0x3ffffff0, v10
	v_mov_b32_e32 v10, 0
	s_delay_alu instid0(VALU_DEP_2)
	v_max_i32_e32 v16, s92, v12
	s_wait_alu 0xfffe
	s_and_saveexec_b32 s15, s13
	s_cbranch_execz .LBB4_1150
; %bb.1011:                             ;   in Loop: Header=BB4_47 Depth=1
	v_add_co_u32 v18, vcc_lo, v8, v149
	s_wait_alu 0xfffd
	v_add_co_ci_u32_e64 v19, null, v9, v150, vcc_lo
	v_mov_b32_e32 v17, 0
	s_mov_b32 s18, 1
	s_mov_b32 s17, -1
	s_mov_b32 s16, 0
	s_branch .LBB4_1013
.LBB4_1012:                             ;   in Loop: Header=BB4_1013 Depth=2
	s_wait_alu 0xfffe
	s_or_b32 exec_lo, exec_lo, s13
	v_dual_mov_b32 v10, s18 :: v_dual_add_nc_u32 v17, v16, v17
	s_xor_b32 s13, s17, -1
	s_mov_b32 s17, 0
	s_mov_b32 s18, 2
	s_delay_alu instid0(VALU_DEP_1)
	v_cmp_ge_i32_e32 vcc_lo, v17, v3
	s_wait_alu 0xfffe
	s_or_b32 s13, s13, vcc_lo
	s_wait_alu 0xfffe
	s_and_b32 s13, exec_lo, s13
	s_wait_alu 0xfffe
	s_or_b32 s16, s13, s16
	s_wait_alu 0xfffe
	s_and_not1_b32 exec_lo, exec_lo, s16
	s_cbranch_execz .LBB4_1149
.LBB4_1013:                             ;   Parent Loop BB4_47 Depth=1
                                        ; =>  This Loop Header: Depth=2
                                        ;       Child Loop BB4_1021 Depth 3
                                        ;       Child Loop BB4_1045 Depth 3
	;; [unrolled: 1-line block ×9, first 2 shown]
	s_and_saveexec_b32 s14, s0
	s_cbranch_execz .LBB4_1015
; %bb.1014:                             ;   in Loop: Header=BB4_1013 Depth=2
	s_trap 2
	ds_load_b128 v[8:11], v0
	v_ashrrev_i32_e32 v12, 31, v17
	s_wait_dscnt 0x0
	v_add_co_u32 v13, vcc_lo, v10, v18
	s_wait_alu 0xfffd
	v_add_co_ci_u32_e64 v14, null, v11, v19, vcc_lo
	v_add_co_u32 v8, vcc_lo, v8, v18
	s_wait_alu 0xfffd
	v_add_co_ci_u32_e64 v9, null, v9, v19, vcc_lo
	;; [unrolled: 3-line block ×3, first 2 shown]
	v_cmp_ne_u64_e32 vcc_lo, 0, v[10:11]
	v_add_co_u32 v8, s13, v8, v17
	s_wait_alu 0xf1ff
	v_add_co_ci_u32_e64 v9, null, v9, v12, s13
	s_wait_alu 0xfffd
	v_dual_cndmask_b32 v11, 0, v14 :: v_dual_cndmask_b32 v10, 0, v13
	ds_store_b64 v0, v[8:9]
	ds_store_b64 v0, v[10:11]
.LBB4_1015:                             ;   in Loop: Header=BB4_1013 Depth=2
	s_wait_alu 0xfffe
	s_or_b32 exec_lo, exec_lo, s14
	v_and_b32_e32 v8, 4, v30
	s_mov_b32 s14, exec_lo
	s_delay_alu instid0(VALU_DEP_1)
	v_cmpx_ne_u32_e32 0, v8
	s_cbranch_execz .LBB4_1037
; %bb.1016:                             ;   in Loop: Header=BB4_1013 Depth=2
	v_add_co_u32 v8, vcc_lo, v64, 2
	s_wait_alu 0xfffd
	v_add_co_ci_u32_e64 v9, null, 0, v65, vcc_lo
	s_mov_b32 s19, exec_lo
	v_cmpx_lt_u64_e64 v[48:49], v[8:9]
	s_cbranch_execz .LBB4_1028
; %bb.1017:                             ;   in Loop: Header=BB4_1013 Depth=2
	v_and_b32_e32 v10, 64, v30
	s_mov_b32 s20, 0
	s_mov_b32 s24, 0
                                        ; implicit-def: $sgpr21
                                        ; implicit-def: $sgpr22
                                        ; implicit-def: $sgpr23
	s_delay_alu instid0(VALU_DEP_1)
	v_cmp_eq_u32_e32 vcc_lo, 0, v10
	s_branch .LBB4_1021
.LBB4_1018:                             ;   in Loop: Header=BB4_1021 Depth=3
	v_cmp_ge_u64_e64 s13, v[48:49], v[8:9]
	s_or_b32 s27, s27, exec_lo
	s_or_not1_b32 s26, s13, exec_lo
.LBB4_1019:                             ;   in Loop: Header=BB4_1021 Depth=3
	s_wait_alu 0xfffe
	s_or_b32 exec_lo, exec_lo, s29
	s_delay_alu instid0(SALU_CYCLE_1)
	s_and_not1_b32 s13, s23, exec_lo
	s_and_b32 s23, s27, exec_lo
	s_and_not1_b32 s22, s22, exec_lo
	s_and_b32 s26, s26, exec_lo
	s_wait_alu 0xfffe
	s_or_b32 s23, s13, s23
	s_or_b32 s22, s22, s26
.LBB4_1020:                             ;   in Loop: Header=BB4_1021 Depth=3
	s_wait_alu 0xfffe
	s_or_b32 exec_lo, exec_lo, s25
	s_delay_alu instid0(SALU_CYCLE_1)
	s_and_b32 s13, exec_lo, s22
	s_wait_alu 0xfffe
	s_or_b32 s20, s13, s20
	s_and_not1_b32 s13, s21, exec_lo
	s_and_b32 s21, s23, exec_lo
	s_wait_alu 0xfffe
	s_or_b32 s21, s13, s21
	s_and_not1_b32 exec_lo, exec_lo, s20
	s_cbranch_execz .LBB4_1025
.LBB4_1021:                             ;   Parent Loop BB4_47 Depth=1
                                        ;     Parent Loop BB4_1013 Depth=2
                                        ; =>    This Inner Loop Header: Depth=3
	s_sleep 1
	flat_load_b64 v[48:49], v[32:33] scope:SCOPE_SYS
	s_wait_loadcnt_dscnt 0x0
	global_inv scope:SCOPE_SYS
	s_or_b32 s23, s23, exec_lo
	s_or_b32 s22, s22, exec_lo
                                        ; implicit-def: $vgpr10
	s_and_saveexec_b32 s25, vcc_lo
	s_cbranch_execz .LBB4_1020
; %bb.1022:                             ;   in Loop: Header=BB4_1021 Depth=3
	s_wait_alu 0xfffe
	s_cmp_lt_i32 s24, 0x270f
	s_mov_b32 s26, -1
	s_cselect_b32 s28, -1, 0
	s_cmp_gt_i32 s24, 0x270e
	s_cbranch_scc0 .LBB4_1024
; %bb.1023:                             ;   in Loop: Header=BB4_1021 Depth=3
	s_trap 2
	ds_load_b64 v[10:11], v0
	s_wait_alu 0xfffe
	s_and_not1_b32 s24, s28, exec_lo
	s_mov_b32 s27, 0
	s_wait_storecnt 0x0
	s_wait_loadcnt_dscnt 0x0
	flat_load_b32 v10, v[10:11] scope:SCOPE_SYS
	s_wait_loadcnt_dscnt 0x0
	global_inv scope:SCOPE_SYS
	v_cmp_eq_u32_e64 s13, 0, v10
	s_and_b32 s13, s13, exec_lo
	s_wait_alu 0xfffe
	s_or_b32 s28, s24, s13
	s_mov_b32 s24, 0
	s_wait_alu 0xfffe
	s_and_saveexec_b32 s29, s28
	s_cbranch_execz .LBB4_1019
	s_branch .LBB4_1018
.LBB4_1024:                             ;   in Loop: Header=BB4_1021 Depth=3
	s_add_co_i32 s24, s24, 1
	s_mov_b32 s27, -1
                                        ; implicit-def: $vgpr10
	s_wait_alu 0xfffe
	s_and_saveexec_b32 s29, s28
	s_cbranch_execz .LBB4_1019
	s_branch .LBB4_1018
.LBB4_1025:                             ;   in Loop: Header=BB4_1013 Depth=2
	s_or_b32 exec_lo, exec_lo, s20
	s_wait_alu 0xfffe
	s_xor_b32 s13, s21, -1
	s_wait_alu 0xfffe
	s_and_saveexec_b32 s20, s13
	s_wait_alu 0xfffe
	s_xor_b32 s13, exec_lo, s20
	s_cbranch_execz .LBB4_1027
; %bb.1026:                             ;   in Loop: Header=BB4_1013 Depth=2
	v_or_b32_e32 v30, 64, v30
	s_wait_loadcnt 0x0
	s_wait_storecnt 0x0
	ds_store_b32 v0, v10
	s_trap 2
.LBB4_1027:                             ;   in Loop: Header=BB4_1013 Depth=2
	s_wait_alu 0xfffe
	s_or_b32 exec_lo, exec_lo, s13
.LBB4_1028:                             ;   in Loop: Header=BB4_1013 Depth=2
	s_wait_alu 0xfffe
	s_or_b32 exec_lo, exec_lo, s19
	v_and_b32_e32 v10, 0x100, v30
	v_and_b32_e32 v14, 7, v64
	s_mov_b32 s13, -1
	;;#ASMSTART
	s_wakeup
	;;#ASMEND
	s_delay_alu instid0(VALU_DEP_2)
	v_cmp_ne_u32_e32 vcc_lo, 0, v10
                                        ; implicit-def: $vgpr10_vgpr11
	s_and_saveexec_b32 s19, vcc_lo
	s_cbranch_execz .LBB4_1032
; %bb.1029:                             ;   in Loop: Header=BB4_1013 Depth=2
	v_mad_co_u64_u32 v[12:13], null, v14, 24, v[6:7]
	flat_load_b32 v10, v[12:13]
	s_wait_loadcnt_dscnt 0x0
	v_cmp_eq_u32_e64 s13, 1, v10
	v_cmp_ne_u32_e32 vcc_lo, 1, v10
                                        ; implicit-def: $vgpr10_vgpr11
	s_wait_alu 0xfffe
	s_and_saveexec_b32 s20, s13
	s_cbranch_execz .LBB4_1031
; %bb.1030:                             ;   in Loop: Header=BB4_1013 Depth=2
	flat_load_b32 v10, v[12:13] offset:4 scope:SCOPE_SYS
	s_wait_loadcnt_dscnt 0x0
	v_ashrrev_i32_e32 v11, 31, v10
.LBB4_1031:                             ;   in Loop: Header=BB4_1013 Depth=2
	s_wait_alu 0xfffe
	s_or_b32 exec_lo, exec_lo, s20
	s_delay_alu instid0(SALU_CYCLE_1)
	s_or_not1_b32 s13, vcc_lo, exec_lo
.LBB4_1032:                             ;   in Loop: Header=BB4_1013 Depth=2
	s_wait_alu 0xfffe
	s_or_b32 exec_lo, exec_lo, s19
	s_and_saveexec_b32 s19, s13
; %bb.1033:                             ;   in Loop: Header=BB4_1013 Depth=2
	v_mad_co_i64_i32 v[10:11], null, v14, v100, 0
; %bb.1034:                             ;   in Loop: Header=BB4_1013 Depth=2
	s_wait_alu 0xfffe
	s_or_b32 exec_lo, exec_lo, s19
	s_delay_alu instid0(VALU_DEP_1) | instskip(SKIP_2) | instid1(VALU_DEP_3)
	v_add_co_u32 v10, vcc_lo, v34, v10
	v_and_b32_e32 v12, 0x2000, v30
	s_wait_alu 0xfffd
	v_add_co_ci_u32_e64 v11, null, v35, v11, vcc_lo
	s_mov_b32 s13, exec_lo
	ds_store_b64 v0, v[10:11] offset:720
	v_cmpx_ne_u32_e32 0, v12
	s_cbranch_execz .LBB4_1036
; %bb.1035:                             ;   in Loop: Header=BB4_1013 Depth=2
	ds_load_b64 v[10:11], v0 offset:872
	s_wait_dscnt 0x0
	v_add_co_u32 v10, vcc_lo, v10, 1
	s_wait_alu 0xfffd
	v_add_co_ci_u32_e64 v11, null, 0, v11, vcc_lo
	ds_store_b64 v0, v[10:11] offset:872
.LBB4_1036:                             ;   in Loop: Header=BB4_1013 Depth=2
	s_wait_alu 0xfffe
	s_or_b32 exec_lo, exec_lo, s13
	v_dual_mov_b32 v65, v9 :: v_dual_mov_b32 v64, v8
.LBB4_1037:                             ;   in Loop: Header=BB4_1013 Depth=2
	s_wait_alu 0xfffe
	s_or_b32 exec_lo, exec_lo, s14
	s_and_saveexec_b32 s13, s2
	s_cbranch_execz .LBB4_1056
; %bb.1038:                             ;   in Loop: Header=BB4_1013 Depth=2
	s_and_saveexec_b32 s14, s3
	s_wait_alu 0xfffe
	s_xor_b32 s14, exec_lo, s14
	s_cbranch_execz .LBB4_1053
; %bb.1039:                             ;   in Loop: Header=BB4_1013 Depth=2
	s_and_saveexec_b32 s19, s6
	s_cbranch_execz .LBB4_1052
; %bb.1040:                             ;   in Loop: Header=BB4_1013 Depth=2
	s_mov_b32 s21, exec_lo
	s_mov_b32 s20, exec_lo
	s_wait_alu 0xfffe
	v_mbcnt_lo_u32_b32 v8, s21, 0
	s_wait_storecnt 0x0
	s_wait_loadcnt_dscnt 0x0
	global_inv scope:SCOPE_DEV
	v_cmpx_eq_u32_e32 0, v8
	s_cbranch_execz .LBB4_1042
; %bb.1041:                             ;   in Loop: Header=BB4_1013 Depth=2
	s_bcnt1_i32_b32 s21, s21
	s_wait_alu 0xfffe
	v_dual_mov_b32 v9, v2 :: v_dual_mov_b32 v8, s21
	s_wait_loadcnt 0x0
	ds_add_u64 v0, v[8:9]
	s_trap 2
.LBB4_1042:                             ;   in Loop: Header=BB4_1013 Depth=2
	s_or_b32 exec_lo, exec_lo, s20
	s_trap 2
	ds_load_b64 v[8:9], v0
	s_wait_dscnt 0x0
	global_inv scope:SCOPE_SE
	v_add_co_u32 v38, vcc_lo, v38, v103
	s_wait_alu 0xfffd
	v_add_co_ci_u32_e64 v39, null, 0, v39, vcc_lo
	s_mov_b32 s20, exec_lo
	v_cmpx_lt_u64_e64 v[8:9], v[38:39]
	s_cbranch_execz .LBB4_1051
; %bb.1043:                             ;   in Loop: Header=BB4_1013 Depth=2
	s_mov_b32 s21, 0
	s_mov_b32 s24, 0
                                        ; implicit-def: $sgpr22
                                        ; implicit-def: $sgpr23
	s_branch .LBB4_1045
.LBB4_1044:                             ;   in Loop: Header=BB4_1045 Depth=3
	s_wait_alu 0xfffe
	s_or_b32 exec_lo, exec_lo, s26
	s_delay_alu instid0(SALU_CYCLE_1)
	s_and_b32 s25, exec_lo, s27
	s_wait_alu 0xfffe
	s_or_b32 s21, s25, s21
	s_and_not1_b32 s22, s22, exec_lo
	s_and_b32 s25, s23, exec_lo
	s_wait_alu 0xfffe
	s_or_b32 s22, s22, s25
	s_and_not1_b32 exec_lo, exec_lo, s21
	s_cbranch_execz .LBB4_1049
.LBB4_1045:                             ;   Parent Loop BB4_47 Depth=1
                                        ;     Parent Loop BB4_1013 Depth=2
                                        ; =>    This Inner Loop Header: Depth=3
	s_wait_alu 0xfffe
	s_add_co_i32 s24, s24, 1
	s_wait_alu 0xfffe
	s_cmp_lg_u32 s24, 0x2710
	s_cselect_b32 s25, -1, 0
	s_wait_alu 0xfffe
	s_and_b32 vcc_lo, exec_lo, s25
	s_wait_alu 0xfffe
	s_cbranch_vccz .LBB4_1047
; %bb.1046:                             ;   in Loop: Header=BB4_1045 Depth=3
	s_mov_b32 s27, -1
	s_or_b32 s23, s23, exec_lo
	s_and_saveexec_b32 s26, s25
	s_cbranch_execz .LBB4_1044
	s_branch .LBB4_1048
.LBB4_1047:                             ;   in Loop: Header=BB4_1045 Depth=3
	s_trap 2
	ds_load_b64 v[8:9], v0
	s_and_not1_b32 s25, s25, exec_lo
	s_mov_b32 s24, 0
	s_wait_loadcnt_dscnt 0x0
	flat_load_b32 v8, v[8:9] scope:SCOPE_SYS
	s_wait_loadcnt_dscnt 0x0
	global_inv scope:SCOPE_SYS
	v_cmp_eq_u32_e32 vcc_lo, 0, v8
	s_and_b32 s26, vcc_lo, exec_lo
	s_wait_alu 0xfffe
	s_or_b32 s25, s25, s26
	s_mov_b32 s27, -1
	s_or_b32 s23, s23, exec_lo
	s_wait_alu 0xfffe
	s_and_saveexec_b32 s26, s25
	s_cbranch_execz .LBB4_1044
.LBB4_1048:                             ;   in Loop: Header=BB4_1045 Depth=3
	s_sleep 1
	s_trap 2
	ds_load_b64 v[8:9], v0
	s_wait_dscnt 0x0
	global_inv scope:SCOPE_SE
	s_wait_alu 0xfffe
	s_and_not1_b32 s23, s23, exec_lo
	v_cmp_ge_u64_e32 vcc_lo, v[8:9], v[38:39]
	s_or_not1_b32 s27, vcc_lo, exec_lo
	s_branch .LBB4_1044
.LBB4_1049:                             ;   in Loop: Header=BB4_1013 Depth=2
	s_or_b32 exec_lo, exec_lo, s21
	s_wait_alu 0xfffe
	s_and_saveexec_b32 s21, s22
	s_wait_alu 0xfffe
	s_xor_b32 s21, exec_lo, s21
	s_cbranch_execz .LBB4_1051
; %bb.1050:                             ;   in Loop: Header=BB4_1013 Depth=2
	ds_store_b32 v0, v113
	s_trap 2
.LBB4_1051:                             ;   in Loop: Header=BB4_1013 Depth=2
	s_wait_alu 0xfffe
	s_or_b32 exec_lo, exec_lo, s20
	;;#ASMSTART
	s_wakeup
	;;#ASMEND
.LBB4_1052:                             ;   in Loop: Header=BB4_1013 Depth=2
	s_wait_alu 0xfffe
	s_or_b32 exec_lo, exec_lo, s19
.LBB4_1053:                             ;   in Loop: Header=BB4_1013 Depth=2
	s_wait_alu 0xfffe
	s_and_not1_saveexec_b32 s14, s14
	s_cbranch_execz .LBB4_1055
; %bb.1054:                             ;   in Loop: Header=BB4_1013 Depth=2
	s_wait_storecnt 0x0
	s_wait_loadcnt_dscnt 0x0
	global_inv scope:SCOPE_DEV
	s_barrier_signal -1
	s_barrier_wait -1
.LBB4_1055:                             ;   in Loop: Header=BB4_1013 Depth=2
	s_wait_alu 0xfffe
	s_or_b32 exec_lo, exec_lo, s14
.LBB4_1056:                             ;   in Loop: Header=BB4_1013 Depth=2
	s_wait_alu 0xfffe
	s_or_b32 exec_lo, exec_lo, s13
	s_trap 2
	ds_load_b32 v12, v0
	v_and_b32_e32 v8, 0x4000, v30
	s_xor_b32 s13, s1, -1
	s_delay_alu instid0(VALU_DEP_1)
	v_cmp_ne_u32_e32 vcc_lo, 0, v8
	s_wait_alu 0xfffe
	s_and_b32 s14, s13, vcc_lo
	s_wait_alu 0xfffe
	s_and_saveexec_b32 s13, s14
	s_cbranch_execz .LBB4_1075
; %bb.1057:                             ;   in Loop: Header=BB4_1013 Depth=2
	s_and_saveexec_b32 s14, s3
	s_wait_alu 0xfffe
	s_xor_b32 s14, exec_lo, s14
	s_cbranch_execz .LBB4_1072
; %bb.1058:                             ;   in Loop: Header=BB4_1013 Depth=2
	s_and_saveexec_b32 s19, s6
	s_cbranch_execz .LBB4_1071
; %bb.1059:                             ;   in Loop: Header=BB4_1013 Depth=2
	s_mov_b32 s21, exec_lo
	s_mov_b32 s20, exec_lo
	s_wait_alu 0xfffe
	v_mbcnt_lo_u32_b32 v8, s21, 0
	s_wait_storecnt 0x0
	s_wait_loadcnt_dscnt 0x0
	global_inv scope:SCOPE_DEV
	v_cmpx_eq_u32_e32 0, v8
	s_cbranch_execz .LBB4_1061
; %bb.1060:                             ;   in Loop: Header=BB4_1013 Depth=2
	s_bcnt1_i32_b32 s21, s21
	s_wait_alu 0xfffe
	v_dual_mov_b32 v9, v2 :: v_dual_mov_b32 v8, s21
	s_wait_loadcnt 0x0
	ds_add_u64 v0, v[8:9]
	s_trap 2
.LBB4_1061:                             ;   in Loop: Header=BB4_1013 Depth=2
	s_or_b32 exec_lo, exec_lo, s20
	s_trap 2
	ds_load_b64 v[8:9], v0
	s_wait_dscnt 0x0
	global_inv scope:SCOPE_SE
	v_add_co_u32 v38, vcc_lo, v38, v103
	s_wait_alu 0xfffd
	v_add_co_ci_u32_e64 v39, null, 0, v39, vcc_lo
	s_mov_b32 s20, exec_lo
	v_cmpx_lt_u64_e64 v[8:9], v[38:39]
	s_cbranch_execz .LBB4_1070
; %bb.1062:                             ;   in Loop: Header=BB4_1013 Depth=2
	s_mov_b32 s21, 0
	s_mov_b32 s24, 0
                                        ; implicit-def: $sgpr22
                                        ; implicit-def: $sgpr23
	s_branch .LBB4_1064
.LBB4_1063:                             ;   in Loop: Header=BB4_1064 Depth=3
	s_wait_alu 0xfffe
	s_or_b32 exec_lo, exec_lo, s26
	s_delay_alu instid0(SALU_CYCLE_1)
	s_and_b32 s25, exec_lo, s27
	s_wait_alu 0xfffe
	s_or_b32 s21, s25, s21
	s_and_not1_b32 s22, s22, exec_lo
	s_and_b32 s25, s23, exec_lo
	s_wait_alu 0xfffe
	s_or_b32 s22, s22, s25
	s_and_not1_b32 exec_lo, exec_lo, s21
	s_cbranch_execz .LBB4_1068
.LBB4_1064:                             ;   Parent Loop BB4_47 Depth=1
                                        ;     Parent Loop BB4_1013 Depth=2
                                        ; =>    This Inner Loop Header: Depth=3
	s_wait_alu 0xfffe
	s_add_co_i32 s24, s24, 1
	s_wait_alu 0xfffe
	s_cmp_lg_u32 s24, 0x2710
	s_cselect_b32 s25, -1, 0
	s_wait_alu 0xfffe
	s_and_b32 vcc_lo, exec_lo, s25
	s_wait_alu 0xfffe
	s_cbranch_vccz .LBB4_1066
; %bb.1065:                             ;   in Loop: Header=BB4_1064 Depth=3
	s_mov_b32 s27, -1
	s_or_b32 s23, s23, exec_lo
	s_and_saveexec_b32 s26, s25
	s_cbranch_execz .LBB4_1063
	s_branch .LBB4_1067
.LBB4_1066:                             ;   in Loop: Header=BB4_1064 Depth=3
	s_trap 2
	ds_load_b64 v[8:9], v0
	s_and_not1_b32 s25, s25, exec_lo
	s_mov_b32 s24, 0
	s_wait_loadcnt_dscnt 0x0
	flat_load_b32 v8, v[8:9] scope:SCOPE_SYS
	s_wait_loadcnt_dscnt 0x0
	global_inv scope:SCOPE_SYS
	v_cmp_eq_u32_e32 vcc_lo, 0, v8
	s_and_b32 s26, vcc_lo, exec_lo
	s_wait_alu 0xfffe
	s_or_b32 s25, s25, s26
	s_mov_b32 s27, -1
	s_or_b32 s23, s23, exec_lo
	s_wait_alu 0xfffe
	s_and_saveexec_b32 s26, s25
	s_cbranch_execz .LBB4_1063
.LBB4_1067:                             ;   in Loop: Header=BB4_1064 Depth=3
	s_sleep 1
	s_trap 2
	ds_load_b64 v[8:9], v0
	s_wait_dscnt 0x0
	global_inv scope:SCOPE_SE
	s_wait_alu 0xfffe
	s_and_not1_b32 s23, s23, exec_lo
	v_cmp_ge_u64_e32 vcc_lo, v[8:9], v[38:39]
	s_or_not1_b32 s27, vcc_lo, exec_lo
	s_branch .LBB4_1063
.LBB4_1068:                             ;   in Loop: Header=BB4_1013 Depth=2
	s_or_b32 exec_lo, exec_lo, s21
	s_wait_alu 0xfffe
	s_and_saveexec_b32 s21, s22
	s_wait_alu 0xfffe
	s_xor_b32 s21, exec_lo, s21
	s_cbranch_execz .LBB4_1070
; %bb.1069:                             ;   in Loop: Header=BB4_1013 Depth=2
	ds_store_b32 v0, v113
	s_trap 2
.LBB4_1070:                             ;   in Loop: Header=BB4_1013 Depth=2
	s_wait_alu 0xfffe
	s_or_b32 exec_lo, exec_lo, s20
	;;#ASMSTART
	s_wakeup
	;;#ASMEND
.LBB4_1071:                             ;   in Loop: Header=BB4_1013 Depth=2
	s_wait_alu 0xfffe
	s_or_b32 exec_lo, exec_lo, s19
.LBB4_1072:                             ;   in Loop: Header=BB4_1013 Depth=2
	s_wait_alu 0xfffe
	s_and_not1_saveexec_b32 s14, s14
	s_cbranch_execz .LBB4_1074
; %bb.1073:                             ;   in Loop: Header=BB4_1013 Depth=2
	s_wait_storecnt 0x0
	s_wait_loadcnt_dscnt 0x0
	global_inv scope:SCOPE_DEV
	s_barrier_signal -1
	s_barrier_wait -1
.LBB4_1074:                             ;   in Loop: Header=BB4_1013 Depth=2
	s_wait_alu 0xfffe
	s_or_b32 exec_lo, exec_lo, s14
.LBB4_1075:                             ;   in Loop: Header=BB4_1013 Depth=2
	s_wait_alu 0xfffe
	s_or_b32 exec_lo, exec_lo, s13
	s_trap 2
	ds_load_b64 v[8:9], v0
	v_sub_nc_u32_e32 v10, v3, v17
	s_delay_alu instid0(VALU_DEP_1)
	v_min_i32_e32 v16, v16, v10
	s_wait_dscnt 0x0
	v_cmp_eq_u64_e32 vcc_lo, 0, v[8:9]
	s_cbranch_vccnz .LBB4_1083
; %bb.1076:                             ;   in Loop: Header=BB4_1013 Depth=2
	s_trap 2
	ds_load_b64 v[10:11], v0
	s_wait_dscnt 0x0
	v_cmp_eq_u64_e32 vcc_lo, 0, v[10:11]
	s_cbranch_vccnz .LBB4_1083
; %bb.1077:                             ;   in Loop: Header=BB4_1013 Depth=2
	s_mov_b32 s13, -1
	s_and_saveexec_b32 s14, s11
	s_cbranch_execz .LBB4_1079
; %bb.1078:                             ;   in Loop: Header=BB4_1013 Depth=2
	ds_load_b32 v13, v0 offset:720
	s_wait_dscnt 0x0
	v_and_b32_e32 v13, 15, v13
	s_delay_alu instid0(VALU_DEP_1)
	v_cmp_eq_u32_e32 vcc_lo, 0, v13
	s_or_not1_b32 s13, vcc_lo, exec_lo
.LBB4_1079:                             ;   in Loop: Header=BB4_1013 Depth=2
	s_wait_alu 0xfffe
	s_or_b32 exec_lo, exec_lo, s14
	s_and_saveexec_b32 s14, s7
	s_cbranch_execz .LBB4_1081
; %bb.1080:                             ;   in Loop: Header=BB4_1013 Depth=2
	ds_load_b32 v13, v0 offset:784
	s_wait_dscnt 0x0
	v_and_b32_e32 v13, 15, v13
	s_delay_alu instid0(VALU_DEP_1)
	v_cmp_eq_u32_e32 vcc_lo, 0, v13
	s_and_b32 s19, s13, vcc_lo
	s_and_not1_b32 s13, s13, exec_lo
	s_wait_alu 0xfffe
	s_and_b32 s19, s19, exec_lo
	s_wait_alu 0xfffe
	s_or_b32 s13, s13, s19
.LBB4_1081:                             ;   in Loop: Header=BB4_1013 Depth=2
	s_wait_alu 0xfffe
	s_or_b32 exec_lo, exec_lo, s14
	v_cmp_eq_u32_e32 vcc_lo, 0, v12
	s_xor_b32 s13, s13, -1
	v_mov_b32_e32 v14, v0
	s_wait_alu 0xfffe
	v_cndmask_b32_e64 v13, 0, 1, s13
	s_mov_b32 s13, -1
	s_wait_alu 0xfffd
	v_dual_cndmask_b32 v20, 0, v16 :: v_dual_mov_b32 v67, v130
	v_mov_b32_e32 v12, 0
	v_cmp_ne_u32_e32 vcc_lo, 0, v13
	s_delay_alu instid0(VALU_DEP_3)
	v_mov_b32_e32 v13, v20
	s_cbranch_vccz .LBB4_1088
; %bb.1082:                             ;   in Loop: Header=BB4_1013 Depth=2
	s_wait_alu 0xfffe
	s_and_saveexec_b32 s14, s13
	s_cbranch_execnz .LBB4_1101
	s_branch .LBB4_1109
.LBB4_1083:                             ;   in Loop: Header=BB4_1013 Depth=2
	s_mov_b32 s13, 0
	s_and_saveexec_b32 s14, s2
	s_cbranch_execnz .LBB4_1110
.LBB4_1084:                             ;   in Loop: Header=BB4_1013 Depth=2
	s_wait_alu 0xfffe
	s_or_b32 exec_lo, exec_lo, s14
	s_and_saveexec_b32 s14, s10
	s_wait_alu 0xfffe
	s_xor_b32 s14, exec_lo, s14
	s_cbranch_execz .LBB4_1128
.LBB4_1085:                             ;   in Loop: Header=BB4_1013 Depth=2
	v_and_b32_e32 v8, 16, v30
	s_delay_alu instid0(VALU_DEP_1)
	v_cmp_ne_u32_e32 vcc_lo, 0, v8
	s_and_b32 s19, vcc_lo, s13
	s_wait_alu 0xfffe
	s_and_saveexec_b32 s13, s19
	s_cbranch_execz .LBB4_1087
; %bb.1086:                             ;   in Loop: Header=BB4_1013 Depth=2
	global_wb scope:SCOPE_SYS
	s_wait_storecnt 0x0
	s_wait_loadcnt_dscnt 0x0
	global_inv scope:SCOPE_SYS
.LBB4_1087:                             ;   in Loop: Header=BB4_1013 Depth=2
	s_wait_alu 0xfffe
	s_or_b32 exec_lo, exec_lo, s13
	s_and_not1_saveexec_b32 s13, s14
	s_cbranch_execz .LBB4_1147
	s_branch .LBB4_1129
.LBB4_1088:                             ;   in Loop: Header=BB4_1013 Depth=2
	v_ashrrev_i32_e32 v12, 31, v20
	s_mov_b32 s14, exec_lo
	s_delay_alu instid0(VALU_DEP_1) | instskip(NEXT) | instid1(VALU_DEP_1)
	v_lshrrev_b32_e32 v12, 21, v12
	v_add_nc_u32_e32 v12, v20, v12
	s_delay_alu instid0(VALU_DEP_1) | instskip(NEXT) | instid1(VALU_DEP_1)
	v_ashrrev_i32_e32 v22, 11, v12
	v_sub_nc_u32_e32 v21, v22, v130
	s_delay_alu instid0(VALU_DEP_1)
	v_cmpx_lt_i32_e32 0, v21
	s_cbranch_execz .LBB4_1092
; %bb.1089:                             ;   in Loop: Header=BB4_1013 Depth=2
	v_dual_mov_b32 v13, v11 :: v_dual_mov_b32 v12, v10
	v_dual_mov_b32 v15, v9 :: v_dual_mov_b32 v14, v8
	s_mov_b32 s19, 0
.LBB4_1090:                             ;   Parent Loop BB4_47 Depth=1
                                        ;     Parent Loop BB4_1013 Depth=2
                                        ; =>    This Inner Loop Header: Depth=3
	s_delay_alu instid0(VALU_DEP_1) | instskip(SKIP_1) | instid1(VALU_DEP_2)
	v_add_co_u32 v70, vcc_lo, v135, v14
	s_wait_alu 0xfffd
	v_add_co_ci_u32_e64 v71, null, v147, v15, vcc_lo
	v_sub_nc_u32_e32 v21, v21, v103
	s_clause 0x3
	global_load_b128 v[66:69], v[70:71], off th:TH_LOAD_NT
	global_load_b128 v[80:83], v[70:71], off offset:512 th:TH_LOAD_NT
	global_load_b128 v[84:87], v[70:71], off offset:1024 th:TH_LOAD_NT
	global_load_b128 v[96:99], v[70:71], off offset:1536 th:TH_LOAD_NT
	v_add_co_u32 v70, vcc_lo, v135, v12
	s_wait_alu 0xfffd
	v_add_co_ci_u32_e64 v71, null, v147, v13, vcc_lo
	v_add_co_u32 v14, vcc_lo, v14, v116
	s_wait_alu 0xfffd
	v_add_co_ci_u32_e64 v15, null, 0, v15, vcc_lo
	v_add_co_u32 v12, vcc_lo, v12, v116
	v_cmp_gt_i32_e64 s13, 1, v21
	s_wait_alu 0xfffd
	v_add_co_ci_u32_e64 v13, null, 0, v13, vcc_lo
	s_wait_loadcnt 0x3
	global_store_b128 v[70:71], v[66:69], off th:TH_STORE_NT
	s_wait_loadcnt 0x2
	global_store_b128 v[70:71], v[80:83], off offset:512 th:TH_STORE_NT
	s_wait_loadcnt 0x1
	global_store_b128 v[70:71], v[84:87], off offset:1024 th:TH_STORE_NT
	;; [unrolled: 2-line block ×3, first 2 shown]
	s_wait_alu 0xfffe
	s_or_b32 s19, s13, s19
	s_wait_alu 0xfffe
	s_and_not1_b32 exec_lo, exec_lo, s19
	s_cbranch_execnz .LBB4_1090
; %bb.1091:                             ;   in Loop: Header=BB4_1013 Depth=2
	s_or_b32 exec_lo, exec_lo, s19
.LBB4_1092:                             ;   in Loop: Header=BB4_1013 Depth=2
	s_wait_alu 0xfffe
	s_or_b32 exec_lo, exec_lo, s14
	v_dual_mov_b32 v12, 0 :: v_dual_lshlrev_b32 v15, 11, v22
	s_mov_b32 s13, 0
	s_mov_b32 s19, exec_lo
                                        ; implicit-def: $vgpr13
                                        ; implicit-def: $vgpr14
                                        ; implicit-def: $vgpr67
	s_delay_alu instid0(VALU_DEP_1)
	v_cmpx_ne_u32_e64 v20, v15
	s_cbranch_execz .LBB4_1100
; %bb.1093:                             ;   in Loop: Header=BB4_1013 Depth=2
	v_lshlrev_b32_e32 v12, 5, v21
	v_sub_nc_u32_e32 v14, v20, v15
	s_mov_b32 s20, exec_lo
	s_delay_alu instid0(VALU_DEP_2) | instskip(NEXT) | instid1(VALU_DEP_2)
	v_sub_nc_u32_e32 v12, v132, v12
	v_ashrrev_i32_e32 v21, 31, v14
	s_delay_alu instid0(VALU_DEP_2) | instskip(NEXT) | instid1(VALU_DEP_2)
	v_ashrrev_i32_e32 v13, 31, v12
	v_lshrrev_b32_e32 v21, 23, v21
	s_delay_alu instid0(VALU_DEP_2) | instskip(NEXT) | instid1(VALU_DEP_2)
	v_lshrrev_b32_e32 v13, 27, v13
	v_add_nc_u32_e32 v66, v14, v21
	s_delay_alu instid0(VALU_DEP_2) | instskip(NEXT) | instid1(VALU_DEP_2)
	v_add_nc_u32_e32 v13, v12, v13
	v_and_b32_e32 v21, 0xfffffe00, v66
	v_ashrrev_i32_e32 v66, 9, v66
	s_delay_alu instid0(VALU_DEP_3) | instskip(NEXT) | instid1(VALU_DEP_3)
	v_and_b32_e32 v22, 0xffffffe0, v13
	v_sub_nc_u32_e32 v23, v14, v21
	v_ashrrev_i32_e32 v67, 5, v13
	s_delay_alu instid0(VALU_DEP_3) | instskip(NEXT) | instid1(VALU_DEP_3)
	v_sub_nc_u32_e32 v22, v12, v22
	v_cmp_lt_i32_e32 vcc_lo, 15, v23
	s_delay_alu instid0(VALU_DEP_2) | instskip(SKIP_2) | instid1(VALU_DEP_2)
	v_lshlrev_b32_e32 v12, 4, v22
	s_wait_alu 0xfffd
	v_add_co_ci_u32_e64 v66, null, 0, v66, vcc_lo
	v_lshl_add_u32 v13, v67, 9, v12
	s_delay_alu instid0(VALU_DEP_2) | instskip(NEXT) | instid1(VALU_DEP_2)
	v_sub_nc_u32_e32 v66, v66, v67
	v_sub_nc_u32_e32 v12, v14, v13
	s_delay_alu instid0(VALU_DEP_1)
	v_cmpx_lt_i32_e32 15, v12
	s_cbranch_execz .LBB4_1097
; %bb.1094:                             ;   in Loop: Header=BB4_1013 Depth=2
	v_add_nc_u32_e32 v13, v13, v15
	s_mov_b32 s21, 0
	s_delay_alu instid0(VALU_DEP_1)
	v_ashrrev_i32_e32 v14, 31, v13
.LBB4_1095:                             ;   Parent Loop BB4_47 Depth=1
                                        ;     Parent Loop BB4_1013 Depth=2
                                        ; =>    This Inner Loop Header: Depth=3
	v_add_co_u32 v67, s13, v8, v13
	s_wait_alu 0xf1fe
	s_delay_alu instid0(VALU_DEP_2)
	v_add_co_ci_u32_e64 v68, null, v9, v14, s13
	v_sub_nc_u32_e32 v12, v12, v117
	v_add_co_u32 v80, s13, v10, v13
	global_load_b128 v[67:70], v[67:68], off th:TH_LOAD_NT
	s_wait_alu 0xf1ff
	v_add_co_ci_u32_e64 v81, null, v11, v14, s13
	v_cmp_gt_i32_e64 s13, 16, v12
	v_add_co_u32 v13, s14, v13, v117
	v_sub_nc_u32_e32 v66, v66, v103
	s_wait_alu 0xf1ff
	v_add_co_ci_u32_e64 v14, null, 0, v14, s14
	s_or_b32 s21, s13, s21
	s_wait_loadcnt 0x0
	global_store_b128 v[80:81], v[67:70], off th:TH_STORE_NT
	s_wait_alu 0xfffe
	s_and_not1_b32 exec_lo, exec_lo, s21
	s_cbranch_execnz .LBB4_1095
; %bb.1096:                             ;   in Loop: Header=BB4_1013 Depth=2
	s_or_b32 exec_lo, exec_lo, s21
.LBB4_1097:                             ;   in Loop: Header=BB4_1013 Depth=2
	s_wait_alu 0xfffe
	s_or_b32 exec_lo, exec_lo, s20
	v_and_b32_e32 v68, 15, v20
	s_mov_b32 s14, 0
	s_mov_b32 s20, exec_lo
                                        ; implicit-def: $vgpr14
                                        ; implicit-def: $vgpr67
	s_delay_alu instid0(VALU_DEP_1) | instskip(NEXT) | instid1(VALU_DEP_1)
	v_dual_mov_b32 v12, 0 :: v_dual_cndmask_b32 v13, v23, v68
	v_cmpx_ne_u32_e32 0, v13
	s_cbranch_execz .LBB4_1099
; %bb.1098:                             ;   in Loop: Header=BB4_1013 Depth=2
	v_cmp_lt_i32_e64 s13, 0, v66
	s_mov_b32 s14, exec_lo
	s_wait_alu 0xf1ff
	v_cndmask_b32_e64 v12, 0, v103, s13
	s_delay_alu instid0(VALU_DEP_1) | instskip(NEXT) | instid1(VALU_DEP_1)
	v_sub_nc_u32_e32 v12, v12, v66
	v_lshl_add_u32 v14, v12, 5, v22
	v_sub_nc_u32_e32 v22, v23, v68
	s_delay_alu instid0(VALU_DEP_2) | instskip(NEXT) | instid1(VALU_DEP_1)
	v_ashrrev_i32_e32 v12, 31, v14
	v_lshrrev_b32_e32 v12, 27, v12
	s_delay_alu instid0(VALU_DEP_1) | instskip(NEXT) | instid1(VALU_DEP_1)
	v_dual_cndmask_b32 v22, 0, v22 :: v_dual_add_nc_u32 v23, v14, v12
	v_add3_u32 v12, v21, v15, v22
	s_delay_alu instid0(VALU_DEP_2)
	v_ashrrev_i32_e32 v67, 5, v23
.LBB4_1099:                             ;   in Loop: Header=BB4_1013 Depth=2
	s_wait_alu 0xfffe
	s_or_b32 exec_lo, exec_lo, s20
	s_delay_alu instid0(SALU_CYCLE_1)
	s_and_b32 s13, s14, exec_lo
.LBB4_1100:                             ;   in Loop: Header=BB4_1013 Depth=2
	s_wait_alu 0xfffe
	s_or_b32 exec_lo, exec_lo, s19
	s_and_saveexec_b32 s14, s13
	s_cbranch_execz .LBB4_1109
.LBB4_1101:                             ;   in Loop: Header=BB4_1013 Depth=2
	v_ashrrev_i32_e32 v15, 31, v13
	v_ashrrev_i32_e32 v21, 31, v14
	s_mov_b32 s13, exec_lo
	s_delay_alu instid0(VALU_DEP_2) | instskip(NEXT) | instid1(VALU_DEP_2)
	v_lshrrev_b32_e32 v15, 23, v15
	v_lshrrev_b32_e32 v21, 27, v21
	s_delay_alu instid0(VALU_DEP_2) | instskip(NEXT) | instid1(VALU_DEP_1)
	v_add_nc_u32_e32 v15, v13, v15
	v_ashrrev_i32_e32 v22, 9, v15
	s_delay_alu instid0(VALU_DEP_1) | instskip(NEXT) | instid1(VALU_DEP_1)
	v_sub_nc_u32_e32 v15, v22, v67
	v_cmpx_lt_i32_e32 0, v15
	s_cbranch_execz .LBB4_1105
; %bb.1102:                             ;   in Loop: Header=BB4_1013 Depth=2
	v_add_nc_u32_e32 v23, v14, v21
	v_lshlrev_b32_e32 v66, 9, v67
	s_mov_b32 s19, 0
	s_delay_alu instid0(VALU_DEP_2) | instskip(NEXT) | instid1(VALU_DEP_1)
	v_and_b32_e32 v23, 0xffffffe0, v23
	v_sub_nc_u32_e32 v23, v14, v23
	s_delay_alu instid0(VALU_DEP_1) | instskip(NEXT) | instid1(VALU_DEP_1)
	v_add3_u32 v23, v12, v23, v66
	v_ashrrev_i32_e32 v66, 31, v23
.LBB4_1103:                             ;   Parent Loop BB4_47 Depth=1
                                        ;     Parent Loop BB4_1013 Depth=2
                                        ; =>    This Inner Loop Header: Depth=3
	v_add_co_u32 v67, vcc_lo, v23, v8
	s_wait_alu 0xfffd
	s_delay_alu instid0(VALU_DEP_2)
	v_add_co_ci_u32_e64 v68, null, v66, v9, vcc_lo
	v_sub_nc_u32_e32 v15, v15, v103
	s_clause 0xf
	flat_load_u8 v69, v[67:68] th:TH_LOAD_NT
	flat_load_u8 v70, v[67:68] offset:32 th:TH_LOAD_NT
	flat_load_u8 v71, v[67:68] offset:64 th:TH_LOAD_NT
	;; [unrolled: 1-line block ×15, first 2 shown]
	v_add_co_u32 v67, vcc_lo, v23, v10
	s_wait_alu 0xfffd
	v_add_co_ci_u32_e64 v68, null, v66, v11, vcc_lo
	v_add_co_u32 v8, vcc_lo, v8, v117
	s_wait_alu 0xfffd
	v_add_co_ci_u32_e64 v9, null, 0, v9, vcc_lo
	;; [unrolled: 3-line block ×3, first 2 shown]
	v_cmp_gt_i32_e32 vcc_lo, 1, v15
	s_wait_loadcnt_dscnt 0xf0f
	flat_store_b8 v[67:68], v69 th:TH_STORE_NT
	s_wait_loadcnt_dscnt 0xe0f
	flat_store_b8 v[67:68], v70 offset:32 th:TH_STORE_NT
	s_wait_loadcnt_dscnt 0xd0f
	flat_store_b8 v[67:68], v71 offset:64 th:TH_STORE_NT
	;; [unrolled: 2-line block ×15, first 2 shown]
	s_wait_alu 0xfffe
	s_or_b32 s19, vcc_lo, s19
	s_wait_alu 0xfffe
	s_and_not1_b32 exec_lo, exec_lo, s19
	s_cbranch_execnz .LBB4_1103
; %bb.1104:                             ;   in Loop: Header=BB4_1013 Depth=2
	s_or_b32 exec_lo, exec_lo, s19
.LBB4_1105:                             ;   in Loop: Header=BB4_1013 Depth=2
	s_wait_alu 0xfffe
	s_or_b32 exec_lo, exec_lo, s13
	v_lshlrev_b32_e32 v8, 9, v22
	s_delay_alu instid0(VALU_DEP_1)
	v_cmp_ne_u32_e32 vcc_lo, v13, v8
	s_and_b32 exec_lo, exec_lo, vcc_lo
	s_cbranch_execz .LBB4_1109
; %bb.1106:                             ;   in Loop: Header=BB4_1013 Depth=2
	v_add_nc_u32_e32 v9, v14, v21
	v_lshlrev_b32_e32 v10, 5, v15
	s_delay_alu instid0(VALU_DEP_2) | instskip(NEXT) | instid1(VALU_DEP_1)
	v_and_b32_e32 v9, 0xffffffe0, v9
	v_sub_nc_u32_e32 v9, v14, v9
	s_delay_alu instid0(VALU_DEP_1) | instskip(NEXT) | instid1(VALU_DEP_1)
	v_sub_nc_u32_e32 v9, v9, v10
	v_add_nc_u32_e32 v11, v8, v9
	s_delay_alu instid0(VALU_DEP_1) | instskip(NEXT) | instid1(VALU_DEP_1)
	v_sub_nc_u32_e32 v10, v13, v11
	v_cmp_lt_i32_e32 vcc_lo, 0, v10
	s_and_b32 exec_lo, exec_lo, vcc_lo
	s_cbranch_execz .LBB4_1109
; %bb.1107:                             ;   in Loop: Header=BB4_1013 Depth=2
	s_trap 2
	ds_load_b64 v[8:9], v0
	v_add_nc_u32_e32 v11, v11, v12
	s_mov_b32 s19, 0
	s_delay_alu instid0(VALU_DEP_1)
	v_ashrrev_i32_e32 v12, 31, v11
.LBB4_1108:                             ;   Parent Loop BB4_47 Depth=1
                                        ;     Parent Loop BB4_1013 Depth=2
                                        ; =>    This Inner Loop Header: Depth=3
	s_wait_dscnt 0x0
	v_add_co_u32 v13, vcc_lo, v8, v11
	s_wait_alu 0xfffd
	s_delay_alu instid0(VALU_DEP_2)
	v_add_co_ci_u32_e64 v14, null, v9, v12, vcc_lo
	v_sub_nc_u32_e32 v10, v10, v112
	v_add_co_u32 v11, s13, v11, v112
	flat_load_u8 v15, v[13:14] th:TH_LOAD_NT
	s_wait_alu 0xf1ff
	v_add_co_ci_u32_e64 v12, null, 0, v12, s13
	v_cmp_gt_i32_e32 vcc_lo, 1, v10
	s_wait_alu 0xfffe
	s_or_b32 s19, vcc_lo, s19
	s_wait_loadcnt_dscnt 0x0
	flat_store_b8 v[13:14], v15 th:TH_STORE_NT
	s_wait_alu 0xfffe
	s_and_not1_b32 exec_lo, exec_lo, s19
	s_cbranch_execnz .LBB4_1108
.LBB4_1109:                             ;   in Loop: Header=BB4_1013 Depth=2
	s_wait_alu 0xfffe
	s_or_b32 exec_lo, exec_lo, s14
	v_cmp_lt_i32_e64 s13, 0, v20
	s_and_saveexec_b32 s14, s2
	s_cbranch_execz .LBB4_1084
.LBB4_1110:                             ;   in Loop: Header=BB4_1013 Depth=2
	s_and_saveexec_b32 s19, s3
	s_wait_alu 0xfffe
	s_xor_b32 s19, exec_lo, s19
	s_cbranch_execz .LBB4_1125
; %bb.1111:                             ;   in Loop: Header=BB4_1013 Depth=2
	s_and_saveexec_b32 s20, s6
	s_cbranch_execz .LBB4_1124
; %bb.1112:                             ;   in Loop: Header=BB4_1013 Depth=2
	s_mov_b32 s22, exec_lo
	s_mov_b32 s21, exec_lo
	s_wait_alu 0xfffe
	v_mbcnt_lo_u32_b32 v8, s22, 0
	s_wait_storecnt 0x0
	s_wait_loadcnt_dscnt 0x0
	global_inv scope:SCOPE_DEV
	v_cmpx_eq_u32_e32 0, v8
	s_cbranch_execz .LBB4_1114
; %bb.1113:                             ;   in Loop: Header=BB4_1013 Depth=2
	s_bcnt1_i32_b32 s22, s22
	s_wait_alu 0xfffe
	v_dual_mov_b32 v9, v2 :: v_dual_mov_b32 v8, s22
	s_wait_loadcnt 0x0
	ds_add_u64 v0, v[8:9]
	s_trap 2
.LBB4_1114:                             ;   in Loop: Header=BB4_1013 Depth=2
	s_or_b32 exec_lo, exec_lo, s21
	s_trap 2
	ds_load_b64 v[8:9], v0
	s_wait_dscnt 0x0
	global_inv scope:SCOPE_SE
	v_add_co_u32 v38, vcc_lo, v38, v103
	s_wait_alu 0xfffd
	v_add_co_ci_u32_e64 v39, null, 0, v39, vcc_lo
	s_mov_b32 s21, exec_lo
	v_cmpx_lt_u64_e64 v[8:9], v[38:39]
	s_cbranch_execz .LBB4_1123
; %bb.1115:                             ;   in Loop: Header=BB4_1013 Depth=2
	s_mov_b32 s22, 0
	s_mov_b32 s25, 0
                                        ; implicit-def: $sgpr23
                                        ; implicit-def: $sgpr24
	s_branch .LBB4_1117
.LBB4_1116:                             ;   in Loop: Header=BB4_1117 Depth=3
	s_wait_alu 0xfffe
	s_or_b32 exec_lo, exec_lo, s27
	s_delay_alu instid0(SALU_CYCLE_1)
	s_and_b32 s26, exec_lo, s28
	s_wait_alu 0xfffe
	s_or_b32 s22, s26, s22
	s_and_not1_b32 s23, s23, exec_lo
	s_and_b32 s26, s24, exec_lo
	s_wait_alu 0xfffe
	s_or_b32 s23, s23, s26
	s_and_not1_b32 exec_lo, exec_lo, s22
	s_cbranch_execz .LBB4_1121
.LBB4_1117:                             ;   Parent Loop BB4_47 Depth=1
                                        ;     Parent Loop BB4_1013 Depth=2
                                        ; =>    This Inner Loop Header: Depth=3
	s_wait_alu 0xfffe
	s_add_co_i32 s25, s25, 1
	s_wait_alu 0xfffe
	s_cmp_lg_u32 s25, 0x2710
	s_cselect_b32 s26, -1, 0
	s_wait_alu 0xfffe
	s_and_b32 vcc_lo, exec_lo, s26
	s_wait_alu 0xfffe
	s_cbranch_vccz .LBB4_1119
; %bb.1118:                             ;   in Loop: Header=BB4_1117 Depth=3
	s_mov_b32 s28, -1
	s_or_b32 s24, s24, exec_lo
	s_and_saveexec_b32 s27, s26
	s_cbranch_execz .LBB4_1116
	s_branch .LBB4_1120
.LBB4_1119:                             ;   in Loop: Header=BB4_1117 Depth=3
	s_trap 2
	ds_load_b64 v[8:9], v0
	s_and_not1_b32 s26, s26, exec_lo
	s_mov_b32 s25, 0
	s_wait_loadcnt_dscnt 0x0
	flat_load_b32 v8, v[8:9] scope:SCOPE_SYS
	s_wait_loadcnt_dscnt 0x0
	global_inv scope:SCOPE_SYS
	v_cmp_eq_u32_e32 vcc_lo, 0, v8
	s_and_b32 s27, vcc_lo, exec_lo
	s_wait_alu 0xfffe
	s_or_b32 s26, s26, s27
	s_mov_b32 s28, -1
	s_or_b32 s24, s24, exec_lo
	s_wait_alu 0xfffe
	s_and_saveexec_b32 s27, s26
	s_cbranch_execz .LBB4_1116
.LBB4_1120:                             ;   in Loop: Header=BB4_1117 Depth=3
	s_sleep 1
	s_trap 2
	ds_load_b64 v[8:9], v0
	s_wait_dscnt 0x0
	global_inv scope:SCOPE_SE
	s_wait_alu 0xfffe
	s_and_not1_b32 s24, s24, exec_lo
	v_cmp_ge_u64_e32 vcc_lo, v[8:9], v[38:39]
	s_or_not1_b32 s28, vcc_lo, exec_lo
	s_branch .LBB4_1116
.LBB4_1121:                             ;   in Loop: Header=BB4_1013 Depth=2
	s_or_b32 exec_lo, exec_lo, s22
	s_wait_alu 0xfffe
	s_and_saveexec_b32 s22, s23
	s_wait_alu 0xfffe
	s_xor_b32 s22, exec_lo, s22
	s_cbranch_execz .LBB4_1123
; %bb.1122:                             ;   in Loop: Header=BB4_1013 Depth=2
	ds_store_b32 v0, v113
	s_trap 2
.LBB4_1123:                             ;   in Loop: Header=BB4_1013 Depth=2
	s_wait_alu 0xfffe
	s_or_b32 exec_lo, exec_lo, s21
	;;#ASMSTART
	s_wakeup
	;;#ASMEND
.LBB4_1124:                             ;   in Loop: Header=BB4_1013 Depth=2
	s_wait_alu 0xfffe
	s_or_b32 exec_lo, exec_lo, s20
.LBB4_1125:                             ;   in Loop: Header=BB4_1013 Depth=2
	s_wait_alu 0xfffe
	s_and_not1_saveexec_b32 s19, s19
	s_cbranch_execz .LBB4_1127
; %bb.1126:                             ;   in Loop: Header=BB4_1013 Depth=2
	s_wait_storecnt 0x0
	s_wait_loadcnt_dscnt 0x0
	global_inv scope:SCOPE_DEV
	s_barrier_signal -1
	s_barrier_wait -1
.LBB4_1127:                             ;   in Loop: Header=BB4_1013 Depth=2
	s_wait_alu 0xfffe
	s_or_b32 exec_lo, exec_lo, s19
	s_delay_alu instid0(SALU_CYCLE_1)
	s_or_b32 exec_lo, exec_lo, s14
	s_and_saveexec_b32 s14, s10
	s_wait_alu 0xfffe
	s_xor_b32 s14, exec_lo, s14
	s_cbranch_execnz .LBB4_1085
.LBB4_1128:                             ;   in Loop: Header=BB4_1013 Depth=2
	s_wait_alu 0xfffe
	s_and_not1_saveexec_b32 s13, s14
	s_cbranch_execz .LBB4_1147
.LBB4_1129:                             ;   in Loop: Header=BB4_1013 Depth=2
	s_and_saveexec_b32 s14, s3
	s_wait_alu 0xfffe
	s_xor_b32 s14, exec_lo, s14
	s_cbranch_execz .LBB4_1144
; %bb.1130:                             ;   in Loop: Header=BB4_1013 Depth=2
	s_and_saveexec_b32 s19, s6
	s_cbranch_execz .LBB4_1143
; %bb.1131:                             ;   in Loop: Header=BB4_1013 Depth=2
	s_mov_b32 s21, exec_lo
	s_mov_b32 s20, exec_lo
	s_wait_alu 0xfffe
	v_mbcnt_lo_u32_b32 v8, s21, 0
	;;#ASMSTART
	s_waitcnt lgkmcnt(0) vmcnt(0)
	;;#ASMEND
	s_delay_alu instid0(VALU_DEP_1)
	v_cmpx_eq_u32_e32 0, v8
	s_cbranch_execz .LBB4_1133
; %bb.1132:                             ;   in Loop: Header=BB4_1013 Depth=2
	s_bcnt1_i32_b32 s21, s21
	s_wait_alu 0xfffe
	v_dual_mov_b32 v9, v2 :: v_dual_mov_b32 v8, s21
	s_wait_storecnt 0x0
	s_wait_loadcnt_dscnt 0x0
	ds_add_u64 v0, v[8:9]
	s_trap 2
.LBB4_1133:                             ;   in Loop: Header=BB4_1013 Depth=2
	s_or_b32 exec_lo, exec_lo, s20
	s_trap 2
	ds_load_b64 v[8:9], v0
	s_wait_dscnt 0x0
	global_inv scope:SCOPE_SE
	v_add_co_u32 v38, vcc_lo, v38, v103
	s_wait_alu 0xfffd
	v_add_co_ci_u32_e64 v39, null, 0, v39, vcc_lo
	s_mov_b32 s20, exec_lo
	v_cmpx_lt_u64_e64 v[8:9], v[38:39]
	s_cbranch_execz .LBB4_1142
; %bb.1134:                             ;   in Loop: Header=BB4_1013 Depth=2
	s_mov_b32 s21, 0
	s_mov_b32 s24, 0
                                        ; implicit-def: $sgpr22
                                        ; implicit-def: $sgpr23
	s_branch .LBB4_1136
.LBB4_1135:                             ;   in Loop: Header=BB4_1136 Depth=3
	s_wait_alu 0xfffe
	s_or_b32 exec_lo, exec_lo, s26
	s_delay_alu instid0(SALU_CYCLE_1)
	s_and_b32 s25, exec_lo, s27
	s_wait_alu 0xfffe
	s_or_b32 s21, s25, s21
	s_and_not1_b32 s22, s22, exec_lo
	s_and_b32 s25, s23, exec_lo
	s_wait_alu 0xfffe
	s_or_b32 s22, s22, s25
	s_and_not1_b32 exec_lo, exec_lo, s21
	s_cbranch_execz .LBB4_1140
.LBB4_1136:                             ;   Parent Loop BB4_47 Depth=1
                                        ;     Parent Loop BB4_1013 Depth=2
                                        ; =>    This Inner Loop Header: Depth=3
	s_wait_alu 0xfffe
	s_add_co_i32 s24, s24, 1
	s_wait_alu 0xfffe
	s_cmp_lg_u32 s24, 0x2710
	s_cselect_b32 s25, -1, 0
	s_wait_alu 0xfffe
	s_and_b32 vcc_lo, exec_lo, s25
	s_wait_alu 0xfffe
	s_cbranch_vccz .LBB4_1138
; %bb.1137:                             ;   in Loop: Header=BB4_1136 Depth=3
	s_mov_b32 s27, -1
	s_or_b32 s23, s23, exec_lo
	s_and_saveexec_b32 s26, s25
	s_cbranch_execz .LBB4_1135
	s_branch .LBB4_1139
.LBB4_1138:                             ;   in Loop: Header=BB4_1136 Depth=3
	s_trap 2
	ds_load_b64 v[8:9], v0
	s_and_not1_b32 s25, s25, exec_lo
	s_mov_b32 s24, 0
	s_wait_storecnt 0x0
	s_wait_loadcnt_dscnt 0x0
	flat_load_b32 v8, v[8:9] scope:SCOPE_SYS
	s_wait_loadcnt_dscnt 0x0
	global_inv scope:SCOPE_SYS
	v_cmp_eq_u32_e32 vcc_lo, 0, v8
	s_and_b32 s26, vcc_lo, exec_lo
	s_wait_alu 0xfffe
	s_or_b32 s25, s25, s26
	s_mov_b32 s27, -1
	s_or_b32 s23, s23, exec_lo
	s_wait_alu 0xfffe
	s_and_saveexec_b32 s26, s25
	s_cbranch_execz .LBB4_1135
.LBB4_1139:                             ;   in Loop: Header=BB4_1136 Depth=3
	s_sleep 1
	s_trap 2
	ds_load_b64 v[8:9], v0
	s_wait_dscnt 0x0
	global_inv scope:SCOPE_SE
	s_wait_alu 0xfffe
	s_and_not1_b32 s23, s23, exec_lo
	v_cmp_ge_u64_e32 vcc_lo, v[8:9], v[38:39]
	s_or_not1_b32 s27, vcc_lo, exec_lo
	s_branch .LBB4_1135
.LBB4_1140:                             ;   in Loop: Header=BB4_1013 Depth=2
	s_or_b32 exec_lo, exec_lo, s21
	s_wait_alu 0xfffe
	s_and_saveexec_b32 s21, s22
	s_wait_alu 0xfffe
	s_xor_b32 s21, exec_lo, s21
	s_cbranch_execz .LBB4_1142
; %bb.1141:                             ;   in Loop: Header=BB4_1013 Depth=2
	ds_store_b32 v0, v113
	s_trap 2
.LBB4_1142:                             ;   in Loop: Header=BB4_1013 Depth=2
	s_wait_alu 0xfffe
	s_or_b32 exec_lo, exec_lo, s20
	;;#ASMSTART
	s_wakeup
	;;#ASMEND
.LBB4_1143:                             ;   in Loop: Header=BB4_1013 Depth=2
	s_wait_alu 0xfffe
	s_or_b32 exec_lo, exec_lo, s19
.LBB4_1144:                             ;   in Loop: Header=BB4_1013 Depth=2
	s_wait_alu 0xfffe
	s_and_not1_saveexec_b32 s14, s14
	s_cbranch_execz .LBB4_1146
; %bb.1145:                             ;   in Loop: Header=BB4_1013 Depth=2
	;;#ASMSTART
	s_waitcnt lgkmcnt(0) vmcnt(0)
	;;#ASMEND
	s_barrier_signal -1
	s_barrier_wait -1
.LBB4_1146:                             ;   in Loop: Header=BB4_1013 Depth=2
	s_wait_alu 0xfffe
	s_or_b32 exec_lo, exec_lo, s14
.LBB4_1147:                             ;   in Loop: Header=BB4_1013 Depth=2
	s_wait_alu 0xfffe
	s_or_b32 exec_lo, exec_lo, s13
	v_and_b32_e32 v8, 32, v30
	s_mov_b32 s13, exec_lo
	s_delay_alu instid0(VALU_DEP_1)
	v_cmpx_ne_u32_e32 0, v8
	s_cbranch_execz .LBB4_1012
; %bb.1148:                             ;   in Loop: Header=BB4_1013 Depth=2
	v_add_co_u32 v64, vcc_lo, v64, 2
	s_wait_alu 0xfffd
	v_add_co_ci_u32_e64 v65, null, 0, v65, vcc_lo
	global_wb scope:SCOPE_SYS
	s_wait_storecnt 0x0
	s_wait_loadcnt_dscnt 0x0
	flat_store_b64 v[32:33], v[64:65] scope:SCOPE_SYS
	s_branch .LBB4_1012
.LBB4_1149:                             ;   in Loop: Header=BB4_47 Depth=1
	s_or_b32 exec_lo, exec_lo, s16
.LBB4_1150:                             ;   in Loop: Header=BB4_47 Depth=1
	s_wait_alu 0xfffe
	s_or_b32 exec_lo, exec_lo, s15
	s_delay_alu instid0(SALU_CYCLE_1)
	s_mov_b32 s14, exec_lo
	v_cmpx_gt_i32_e32 2, v10
	s_cbranch_execz .LBB4_46
; %bb.1151:                             ;   in Loop: Header=BB4_47 Depth=1
	v_cmp_eq_u32_e64 s16, 0, v10
	s_mov_b32 s15, 0
	s_branch .LBB4_1153
.LBB4_1152:                             ;   in Loop: Header=BB4_1153 Depth=2
	s_wait_alu 0xfffe
	s_or_b32 exec_lo, exec_lo, s13
	v_add_nc_u32_e32 v17, v16, v17
	s_mov_b32 s16, 0
	s_and_not1_b32 exec_lo, exec_lo, s15
	s_cbranch_execz .LBB4_45
.LBB4_1153:                             ;   Parent Loop BB4_47 Depth=1
                                        ; =>  This Loop Header: Depth=2
                                        ;       Child Loop BB4_1159 Depth 3
                                        ;       Child Loop BB4_1183 Depth 3
	;; [unrolled: 1-line block ×3, first 2 shown]
	v_and_b32_e32 v8, 4, v30
	s_mov_b32 s17, exec_lo
	s_delay_alu instid0(VALU_DEP_1)
	v_cmpx_ne_u32_e32 0, v8
	s_cbranch_execz .LBB4_1175
; %bb.1154:                             ;   in Loop: Header=BB4_1153 Depth=2
	v_add_co_u32 v8, vcc_lo, v64, 2
	s_wait_alu 0xfffd
	v_add_co_ci_u32_e64 v9, null, 0, v65, vcc_lo
	s_mov_b32 s18, exec_lo
	v_cmpx_lt_u64_e64 v[48:49], v[8:9]
	s_cbranch_execz .LBB4_1166
; %bb.1155:                             ;   in Loop: Header=BB4_1153 Depth=2
	v_and_b32_e32 v10, 64, v30
	s_mov_b32 s19, 0
	s_mov_b32 s23, 0
                                        ; implicit-def: $sgpr20
                                        ; implicit-def: $sgpr21
                                        ; implicit-def: $sgpr22
	s_delay_alu instid0(VALU_DEP_1)
	v_cmp_eq_u32_e32 vcc_lo, 0, v10
	s_branch .LBB4_1159
.LBB4_1156:                             ;   in Loop: Header=BB4_1159 Depth=3
	v_cmp_ge_u64_e64 s13, v[48:49], v[8:9]
	s_or_b32 s26, s26, exec_lo
	s_or_not1_b32 s25, s13, exec_lo
.LBB4_1157:                             ;   in Loop: Header=BB4_1159 Depth=3
	s_wait_alu 0xfffe
	s_or_b32 exec_lo, exec_lo, s28
	s_delay_alu instid0(SALU_CYCLE_1)
	s_and_not1_b32 s13, s22, exec_lo
	s_and_b32 s22, s26, exec_lo
	s_and_not1_b32 s21, s21, exec_lo
	s_and_b32 s25, s25, exec_lo
	s_wait_alu 0xfffe
	s_or_b32 s22, s13, s22
	s_or_b32 s21, s21, s25
.LBB4_1158:                             ;   in Loop: Header=BB4_1159 Depth=3
	s_wait_alu 0xfffe
	s_or_b32 exec_lo, exec_lo, s24
	s_delay_alu instid0(SALU_CYCLE_1)
	s_and_b32 s13, exec_lo, s21
	s_wait_alu 0xfffe
	s_or_b32 s19, s13, s19
	s_and_not1_b32 s13, s20, exec_lo
	s_and_b32 s20, s22, exec_lo
	s_wait_alu 0xfffe
	s_or_b32 s20, s13, s20
	s_and_not1_b32 exec_lo, exec_lo, s19
	s_cbranch_execz .LBB4_1163
.LBB4_1159:                             ;   Parent Loop BB4_47 Depth=1
                                        ;     Parent Loop BB4_1153 Depth=2
                                        ; =>    This Inner Loop Header: Depth=3
	s_sleep 1
	flat_load_b64 v[48:49], v[32:33] scope:SCOPE_SYS
	s_wait_loadcnt_dscnt 0x0
	global_inv scope:SCOPE_SYS
	s_or_b32 s22, s22, exec_lo
	s_or_b32 s21, s21, exec_lo
                                        ; implicit-def: $vgpr10
	s_and_saveexec_b32 s24, vcc_lo
	s_cbranch_execz .LBB4_1158
; %bb.1160:                             ;   in Loop: Header=BB4_1159 Depth=3
	s_wait_alu 0xfffe
	s_cmp_lt_i32 s23, 0x270f
	s_mov_b32 s25, -1
	s_cselect_b32 s27, -1, 0
	s_cmp_gt_i32 s23, 0x270e
	s_cbranch_scc0 .LBB4_1162
; %bb.1161:                             ;   in Loop: Header=BB4_1159 Depth=3
	s_trap 2
	ds_load_b64 v[10:11], v0
	s_wait_alu 0xfffe
	s_and_not1_b32 s23, s27, exec_lo
	s_mov_b32 s26, 0
	s_wait_storecnt 0x0
	s_wait_loadcnt_dscnt 0x0
	flat_load_b32 v10, v[10:11] scope:SCOPE_SYS
	s_wait_loadcnt_dscnt 0x0
	global_inv scope:SCOPE_SYS
	v_cmp_eq_u32_e64 s13, 0, v10
	s_and_b32 s13, s13, exec_lo
	s_wait_alu 0xfffe
	s_or_b32 s27, s23, s13
	s_mov_b32 s23, 0
	s_wait_alu 0xfffe
	s_and_saveexec_b32 s28, s27
	s_cbranch_execz .LBB4_1157
	s_branch .LBB4_1156
.LBB4_1162:                             ;   in Loop: Header=BB4_1159 Depth=3
	s_add_co_i32 s23, s23, 1
	s_mov_b32 s26, -1
                                        ; implicit-def: $vgpr10
	s_wait_alu 0xfffe
	s_and_saveexec_b32 s28, s27
	s_cbranch_execz .LBB4_1157
	s_branch .LBB4_1156
.LBB4_1163:                             ;   in Loop: Header=BB4_1153 Depth=2
	s_or_b32 exec_lo, exec_lo, s19
	s_wait_alu 0xfffe
	s_xor_b32 s13, s20, -1
	s_wait_alu 0xfffe
	s_and_saveexec_b32 s19, s13
	s_wait_alu 0xfffe
	s_xor_b32 s13, exec_lo, s19
	s_cbranch_execz .LBB4_1165
; %bb.1164:                             ;   in Loop: Header=BB4_1153 Depth=2
	v_or_b32_e32 v30, 64, v30
	s_wait_loadcnt 0x0
	s_wait_storecnt 0x0
	ds_store_b32 v0, v10
	s_trap 2
.LBB4_1165:                             ;   in Loop: Header=BB4_1153 Depth=2
	s_wait_alu 0xfffe
	s_or_b32 exec_lo, exec_lo, s13
.LBB4_1166:                             ;   in Loop: Header=BB4_1153 Depth=2
	s_wait_alu 0xfffe
	s_or_b32 exec_lo, exec_lo, s18
	v_and_b32_e32 v10, 0x100, v30
	v_and_b32_e32 v14, 7, v64
	s_mov_b32 s13, -1
	;;#ASMSTART
	s_wakeup
	;;#ASMEND
	s_delay_alu instid0(VALU_DEP_2)
	v_cmp_ne_u32_e32 vcc_lo, 0, v10
                                        ; implicit-def: $vgpr10_vgpr11
	s_and_saveexec_b32 s18, vcc_lo
	s_cbranch_execz .LBB4_1170
; %bb.1167:                             ;   in Loop: Header=BB4_1153 Depth=2
	v_mad_co_u64_u32 v[12:13], null, v14, 24, v[6:7]
	flat_load_b32 v10, v[12:13]
	s_wait_loadcnt_dscnt 0x0
	v_cmp_eq_u32_e64 s13, 1, v10
	v_cmp_ne_u32_e32 vcc_lo, 1, v10
                                        ; implicit-def: $vgpr10_vgpr11
	s_wait_alu 0xfffe
	s_and_saveexec_b32 s19, s13
	s_cbranch_execz .LBB4_1169
; %bb.1168:                             ;   in Loop: Header=BB4_1153 Depth=2
	flat_load_b32 v10, v[12:13] offset:4 scope:SCOPE_SYS
	s_wait_loadcnt_dscnt 0x0
	v_ashrrev_i32_e32 v11, 31, v10
.LBB4_1169:                             ;   in Loop: Header=BB4_1153 Depth=2
	s_wait_alu 0xfffe
	s_or_b32 exec_lo, exec_lo, s19
	s_delay_alu instid0(SALU_CYCLE_1)
	s_or_not1_b32 s13, vcc_lo, exec_lo
.LBB4_1170:                             ;   in Loop: Header=BB4_1153 Depth=2
	s_wait_alu 0xfffe
	s_or_b32 exec_lo, exec_lo, s18
	s_and_saveexec_b32 s18, s13
; %bb.1171:                             ;   in Loop: Header=BB4_1153 Depth=2
	v_mad_co_i64_i32 v[10:11], null, v14, v100, 0
; %bb.1172:                             ;   in Loop: Header=BB4_1153 Depth=2
	s_wait_alu 0xfffe
	s_or_b32 exec_lo, exec_lo, s18
	s_delay_alu instid0(VALU_DEP_1) | instskip(SKIP_2) | instid1(VALU_DEP_3)
	v_add_co_u32 v10, vcc_lo, v34, v10
	v_and_b32_e32 v12, 0x2000, v30
	s_wait_alu 0xfffd
	v_add_co_ci_u32_e64 v11, null, v35, v11, vcc_lo
	s_mov_b32 s13, exec_lo
	ds_store_b64 v0, v[10:11] offset:720
	v_cmpx_ne_u32_e32 0, v12
	s_cbranch_execz .LBB4_1174
; %bb.1173:                             ;   in Loop: Header=BB4_1153 Depth=2
	ds_load_b64 v[10:11], v0 offset:872
	s_wait_dscnt 0x0
	v_add_co_u32 v10, vcc_lo, v10, 1
	s_wait_alu 0xfffd
	v_add_co_ci_u32_e64 v11, null, 0, v11, vcc_lo
	ds_store_b64 v0, v[10:11] offset:872
.LBB4_1174:                             ;   in Loop: Header=BB4_1153 Depth=2
	s_wait_alu 0xfffe
	s_or_b32 exec_lo, exec_lo, s13
	v_dual_mov_b32 v65, v9 :: v_dual_mov_b32 v64, v8
.LBB4_1175:                             ;   in Loop: Header=BB4_1153 Depth=2
	s_wait_alu 0xfffe
	s_or_b32 exec_lo, exec_lo, s17
	s_xor_b32 s13, s16, -1
	s_wait_alu 0xfffe
	s_and_b32 s13, exec_lo, s13
	s_wait_alu 0xfffe
	s_or_b32 s15, s13, s15
	s_and_saveexec_b32 s13, s2
	s_cbranch_execz .LBB4_1194
; %bb.1176:                             ;   in Loop: Header=BB4_1153 Depth=2
	s_and_saveexec_b32 s16, s3
	s_wait_alu 0xfffe
	s_xor_b32 s16, exec_lo, s16
	s_cbranch_execz .LBB4_1191
; %bb.1177:                             ;   in Loop: Header=BB4_1153 Depth=2
	s_and_saveexec_b32 s17, s6
	s_cbranch_execz .LBB4_1190
; %bb.1178:                             ;   in Loop: Header=BB4_1153 Depth=2
	s_mov_b32 s19, exec_lo
	s_mov_b32 s18, exec_lo
	s_wait_alu 0xfffe
	v_mbcnt_lo_u32_b32 v8, s19, 0
	s_wait_storecnt 0x0
	s_wait_loadcnt_dscnt 0x0
	global_inv scope:SCOPE_DEV
	v_cmpx_eq_u32_e32 0, v8
	s_cbranch_execz .LBB4_1180
; %bb.1179:                             ;   in Loop: Header=BB4_1153 Depth=2
	s_bcnt1_i32_b32 s19, s19
	s_wait_alu 0xfffe
	v_dual_mov_b32 v9, v2 :: v_dual_mov_b32 v8, s19
	s_wait_loadcnt 0x0
	ds_add_u64 v0, v[8:9]
	s_trap 2
.LBB4_1180:                             ;   in Loop: Header=BB4_1153 Depth=2
	s_or_b32 exec_lo, exec_lo, s18
	s_trap 2
	ds_load_b64 v[8:9], v0
	s_wait_dscnt 0x0
	global_inv scope:SCOPE_SE
	v_add_co_u32 v38, vcc_lo, v38, v103
	s_wait_alu 0xfffd
	v_add_co_ci_u32_e64 v39, null, 0, v39, vcc_lo
	s_mov_b32 s18, exec_lo
	v_cmpx_lt_u64_e64 v[8:9], v[38:39]
	s_cbranch_execz .LBB4_1189
; %bb.1181:                             ;   in Loop: Header=BB4_1153 Depth=2
	s_mov_b32 s19, 0
	s_mov_b32 s22, 0
                                        ; implicit-def: $sgpr20
                                        ; implicit-def: $sgpr21
	s_branch .LBB4_1183
.LBB4_1182:                             ;   in Loop: Header=BB4_1183 Depth=3
	s_wait_alu 0xfffe
	s_or_b32 exec_lo, exec_lo, s24
	s_delay_alu instid0(SALU_CYCLE_1)
	s_and_b32 s23, exec_lo, s25
	s_wait_alu 0xfffe
	s_or_b32 s19, s23, s19
	s_and_not1_b32 s20, s20, exec_lo
	s_and_b32 s23, s21, exec_lo
	s_wait_alu 0xfffe
	s_or_b32 s20, s20, s23
	s_and_not1_b32 exec_lo, exec_lo, s19
	s_cbranch_execz .LBB4_1187
.LBB4_1183:                             ;   Parent Loop BB4_47 Depth=1
                                        ;     Parent Loop BB4_1153 Depth=2
                                        ; =>    This Inner Loop Header: Depth=3
	s_wait_alu 0xfffe
	s_add_co_i32 s22, s22, 1
	s_wait_alu 0xfffe
	s_cmp_lg_u32 s22, 0x2710
	s_cselect_b32 s23, -1, 0
	s_wait_alu 0xfffe
	s_and_b32 vcc_lo, exec_lo, s23
	s_wait_alu 0xfffe
	s_cbranch_vccz .LBB4_1185
; %bb.1184:                             ;   in Loop: Header=BB4_1183 Depth=3
	s_mov_b32 s25, -1
	s_or_b32 s21, s21, exec_lo
	s_and_saveexec_b32 s24, s23
	s_cbranch_execz .LBB4_1182
	s_branch .LBB4_1186
.LBB4_1185:                             ;   in Loop: Header=BB4_1183 Depth=3
	s_trap 2
	ds_load_b64 v[8:9], v0
	s_and_not1_b32 s23, s23, exec_lo
	s_mov_b32 s22, 0
	s_wait_loadcnt_dscnt 0x0
	flat_load_b32 v8, v[8:9] scope:SCOPE_SYS
	s_wait_loadcnt_dscnt 0x0
	global_inv scope:SCOPE_SYS
	v_cmp_eq_u32_e32 vcc_lo, 0, v8
	s_and_b32 s24, vcc_lo, exec_lo
	s_wait_alu 0xfffe
	s_or_b32 s23, s23, s24
	s_mov_b32 s25, -1
	s_or_b32 s21, s21, exec_lo
	s_wait_alu 0xfffe
	s_and_saveexec_b32 s24, s23
	s_cbranch_execz .LBB4_1182
.LBB4_1186:                             ;   in Loop: Header=BB4_1183 Depth=3
	s_sleep 1
	s_trap 2
	ds_load_b64 v[8:9], v0
	s_wait_dscnt 0x0
	global_inv scope:SCOPE_SE
	s_wait_alu 0xfffe
	s_and_not1_b32 s21, s21, exec_lo
	v_cmp_ge_u64_e32 vcc_lo, v[8:9], v[38:39]
	s_or_not1_b32 s25, vcc_lo, exec_lo
	s_branch .LBB4_1182
.LBB4_1187:                             ;   in Loop: Header=BB4_1153 Depth=2
	s_or_b32 exec_lo, exec_lo, s19
	s_wait_alu 0xfffe
	s_and_saveexec_b32 s19, s20
	s_wait_alu 0xfffe
	s_xor_b32 s19, exec_lo, s19
	s_cbranch_execz .LBB4_1189
; %bb.1188:                             ;   in Loop: Header=BB4_1153 Depth=2
	ds_store_b32 v0, v113
	s_trap 2
.LBB4_1189:                             ;   in Loop: Header=BB4_1153 Depth=2
	s_wait_alu 0xfffe
	s_or_b32 exec_lo, exec_lo, s18
	;;#ASMSTART
	s_wakeup
	;;#ASMEND
.LBB4_1190:                             ;   in Loop: Header=BB4_1153 Depth=2
	s_wait_alu 0xfffe
	s_or_b32 exec_lo, exec_lo, s17
.LBB4_1191:                             ;   in Loop: Header=BB4_1153 Depth=2
	s_wait_alu 0xfffe
	s_and_not1_saveexec_b32 s16, s16
	s_cbranch_execz .LBB4_1193
; %bb.1192:                             ;   in Loop: Header=BB4_1153 Depth=2
	s_wait_storecnt 0x0
	s_wait_loadcnt_dscnt 0x0
	global_inv scope:SCOPE_DEV
	s_barrier_signal -1
	s_barrier_wait -1
.LBB4_1193:                             ;   in Loop: Header=BB4_1153 Depth=2
	s_wait_alu 0xfffe
	s_or_b32 exec_lo, exec_lo, s16
.LBB4_1194:                             ;   in Loop: Header=BB4_1153 Depth=2
	s_wait_alu 0xfffe
	s_or_b32 exec_lo, exec_lo, s13
	v_sub_nc_u32_e32 v8, v3, v17
	s_delay_alu instid0(VALU_DEP_1)
	v_min_i32_e32 v16, v16, v8
	s_and_saveexec_b32 s13, s10
	s_wait_alu 0xfffe
	s_xor_b32 s16, exec_lo, s13
	s_cbranch_execz .LBB4_1198
; %bb.1195:                             ;   in Loop: Header=BB4_1153 Depth=2
	s_trap 2
	ds_load_b32 v8, v0
	v_cmp_lt_i32_e32 vcc_lo, 0, v16
	s_wait_dscnt 0x0
	v_readfirstlane_b32 s13, v8
	v_and_b32_e32 v8, 16, v30
	s_cmp_eq_u32 s13, 0
	s_delay_alu instid0(VALU_DEP_1)
	v_cmp_ne_u32_e64 s13, 0, v8
	s_cselect_b32 s17, -1, 0
	s_wait_alu 0xfffe
	s_and_b32 s17, vcc_lo, s17
	s_wait_alu 0xfffe
	s_and_b32 s17, s13, s17
	s_wait_alu 0xfffe
	s_and_saveexec_b32 s13, s17
	s_cbranch_execz .LBB4_1197
; %bb.1196:                             ;   in Loop: Header=BB4_1153 Depth=2
	global_wb scope:SCOPE_SYS
	s_wait_loadcnt 0x0
	s_wait_storecnt 0x0
	global_inv scope:SCOPE_SYS
.LBB4_1197:                             ;   in Loop: Header=BB4_1153 Depth=2
	s_wait_alu 0xfffe
	s_or_b32 exec_lo, exec_lo, s13
.LBB4_1198:                             ;   in Loop: Header=BB4_1153 Depth=2
	s_wait_alu 0xfffe
	s_and_not1_saveexec_b32 s13, s16
	s_cbranch_execz .LBB4_1217
; %bb.1199:                             ;   in Loop: Header=BB4_1153 Depth=2
	s_and_saveexec_b32 s16, s3
	s_wait_alu 0xfffe
	s_xor_b32 s16, exec_lo, s16
	s_cbranch_execz .LBB4_1214
; %bb.1200:                             ;   in Loop: Header=BB4_1153 Depth=2
	s_and_saveexec_b32 s17, s6
	s_cbranch_execz .LBB4_1213
; %bb.1201:                             ;   in Loop: Header=BB4_1153 Depth=2
	s_mov_b32 s19, exec_lo
	s_mov_b32 s18, exec_lo
	s_wait_alu 0xfffe
	v_mbcnt_lo_u32_b32 v8, s19, 0
	;;#ASMSTART
	s_waitcnt lgkmcnt(0) vmcnt(0)
	;;#ASMEND
	s_delay_alu instid0(VALU_DEP_1)
	v_cmpx_eq_u32_e32 0, v8
	s_cbranch_execz .LBB4_1203
; %bb.1202:                             ;   in Loop: Header=BB4_1153 Depth=2
	s_bcnt1_i32_b32 s19, s19
	s_wait_alu 0xfffe
	v_dual_mov_b32 v9, v2 :: v_dual_mov_b32 v8, s19
	s_wait_storecnt 0x0
	s_wait_loadcnt_dscnt 0x0
	ds_add_u64 v0, v[8:9]
	s_trap 2
.LBB4_1203:                             ;   in Loop: Header=BB4_1153 Depth=2
	s_or_b32 exec_lo, exec_lo, s18
	s_trap 2
	ds_load_b64 v[8:9], v0
	s_wait_dscnt 0x0
	global_inv scope:SCOPE_SE
	v_add_co_u32 v38, vcc_lo, v38, v103
	s_wait_alu 0xfffd
	v_add_co_ci_u32_e64 v39, null, 0, v39, vcc_lo
	s_mov_b32 s18, exec_lo
	v_cmpx_lt_u64_e64 v[8:9], v[38:39]
	s_cbranch_execz .LBB4_1212
; %bb.1204:                             ;   in Loop: Header=BB4_1153 Depth=2
	s_mov_b32 s19, 0
	s_mov_b32 s22, 0
                                        ; implicit-def: $sgpr20
                                        ; implicit-def: $sgpr21
	s_branch .LBB4_1206
.LBB4_1205:                             ;   in Loop: Header=BB4_1206 Depth=3
	s_wait_alu 0xfffe
	s_or_b32 exec_lo, exec_lo, s24
	s_delay_alu instid0(SALU_CYCLE_1)
	s_and_b32 s23, exec_lo, s25
	s_wait_alu 0xfffe
	s_or_b32 s19, s23, s19
	s_and_not1_b32 s20, s20, exec_lo
	s_and_b32 s23, s21, exec_lo
	s_wait_alu 0xfffe
	s_or_b32 s20, s20, s23
	s_and_not1_b32 exec_lo, exec_lo, s19
	s_cbranch_execz .LBB4_1210
.LBB4_1206:                             ;   Parent Loop BB4_47 Depth=1
                                        ;     Parent Loop BB4_1153 Depth=2
                                        ; =>    This Inner Loop Header: Depth=3
	s_wait_alu 0xfffe
	s_add_co_i32 s22, s22, 1
	s_wait_alu 0xfffe
	s_cmp_lg_u32 s22, 0x2710
	s_cselect_b32 s23, -1, 0
	s_wait_alu 0xfffe
	s_and_b32 vcc_lo, exec_lo, s23
	s_wait_alu 0xfffe
	s_cbranch_vccz .LBB4_1208
; %bb.1207:                             ;   in Loop: Header=BB4_1206 Depth=3
	s_mov_b32 s25, -1
	s_or_b32 s21, s21, exec_lo
	s_and_saveexec_b32 s24, s23
	s_cbranch_execz .LBB4_1205
	s_branch .LBB4_1209
.LBB4_1208:                             ;   in Loop: Header=BB4_1206 Depth=3
	s_trap 2
	ds_load_b64 v[8:9], v0
	s_and_not1_b32 s23, s23, exec_lo
	s_mov_b32 s22, 0
	s_wait_storecnt 0x0
	s_wait_loadcnt_dscnt 0x0
	flat_load_b32 v8, v[8:9] scope:SCOPE_SYS
	s_wait_loadcnt_dscnt 0x0
	global_inv scope:SCOPE_SYS
	v_cmp_eq_u32_e32 vcc_lo, 0, v8
	s_and_b32 s24, vcc_lo, exec_lo
	s_wait_alu 0xfffe
	s_or_b32 s23, s23, s24
	s_mov_b32 s25, -1
	s_or_b32 s21, s21, exec_lo
	s_wait_alu 0xfffe
	s_and_saveexec_b32 s24, s23
	s_cbranch_execz .LBB4_1205
.LBB4_1209:                             ;   in Loop: Header=BB4_1206 Depth=3
	s_sleep 1
	s_trap 2
	ds_load_b64 v[8:9], v0
	s_wait_dscnt 0x0
	global_inv scope:SCOPE_SE
	s_wait_alu 0xfffe
	s_and_not1_b32 s21, s21, exec_lo
	v_cmp_ge_u64_e32 vcc_lo, v[8:9], v[38:39]
	s_or_not1_b32 s25, vcc_lo, exec_lo
	s_branch .LBB4_1205
.LBB4_1210:                             ;   in Loop: Header=BB4_1153 Depth=2
	s_or_b32 exec_lo, exec_lo, s19
	s_wait_alu 0xfffe
	s_and_saveexec_b32 s19, s20
	s_wait_alu 0xfffe
	s_xor_b32 s19, exec_lo, s19
	s_cbranch_execz .LBB4_1212
; %bb.1211:                             ;   in Loop: Header=BB4_1153 Depth=2
	ds_store_b32 v0, v113
	s_trap 2
.LBB4_1212:                             ;   in Loop: Header=BB4_1153 Depth=2
	s_wait_alu 0xfffe
	s_or_b32 exec_lo, exec_lo, s18
	;;#ASMSTART
	s_wakeup
	;;#ASMEND
.LBB4_1213:                             ;   in Loop: Header=BB4_1153 Depth=2
	s_wait_alu 0xfffe
	s_or_b32 exec_lo, exec_lo, s17
.LBB4_1214:                             ;   in Loop: Header=BB4_1153 Depth=2
	s_wait_alu 0xfffe
	s_and_not1_saveexec_b32 s16, s16
	s_cbranch_execz .LBB4_1216
; %bb.1215:                             ;   in Loop: Header=BB4_1153 Depth=2
	;;#ASMSTART
	s_waitcnt lgkmcnt(0) vmcnt(0)
	;;#ASMEND
	s_barrier_signal -1
	s_barrier_wait -1
.LBB4_1216:                             ;   in Loop: Header=BB4_1153 Depth=2
	s_wait_alu 0xfffe
	s_or_b32 exec_lo, exec_lo, s16
.LBB4_1217:                             ;   in Loop: Header=BB4_1153 Depth=2
	s_wait_alu 0xfffe
	s_or_b32 exec_lo, exec_lo, s13
	v_and_b32_e32 v8, 32, v30
	s_mov_b32 s13, exec_lo
	s_delay_alu instid0(VALU_DEP_1)
	v_cmpx_ne_u32_e32 0, v8
	s_cbranch_execz .LBB4_1152
; %bb.1218:                             ;   in Loop: Header=BB4_1153 Depth=2
	v_add_co_u32 v64, vcc_lo, v64, 2
	s_wait_alu 0xfffd
	v_add_co_ci_u32_e64 v65, null, 0, v65, vcc_lo
	global_wb scope:SCOPE_SYS
	s_wait_storecnt 0x0
	s_wait_loadcnt_dscnt 0x0
	flat_store_b64 v[32:33], v[64:65] scope:SCOPE_SYS
	s_branch .LBB4_1152
.LBB4_1219:
	s_or_b32 exec_lo, exec_lo, s34
.LBB4_1220:
	s_wait_alu 0xfffe
	s_or_b32 exec_lo, exec_lo, s79
	v_and_b32_e32 v0, 0x800, v30
	s_mov_b32 s1, exec_lo
	s_delay_alu instid0(VALU_DEP_1)
	v_cmpx_eq_u32_e32 0, v0
	s_cbranch_execz .LBB4_1253
; %bb.1221:
	v_and_b32_e32 v0, 48, v30
	s_mov_b32 s0, exec_lo
	s_delay_alu instid0(VALU_DEP_1)
	v_cmpx_ne_u32_e32 0, v0
	s_cbranch_execz .LBB4_1223
; %bb.1222:
	flat_store_b64 v[28:29], v[64:65] offset:104
.LBB4_1223:
	s_wait_alu 0xfffe
	s_or_b32 exec_lo, exec_lo, s0
	v_and_b32_e32 v0, 0x88, v30
	s_mov_b32 s2, exec_lo
	s_delay_alu instid0(VALU_DEP_1)
	v_cmpx_eq_u32_e32 0x88, v0
	s_cbranch_execz .LBB4_1233
; %bb.1224:
	v_add_nc_u32_e32 v0, 6, v64
	s_mov_b32 s3, 0
	s_delay_alu instid0(VALU_DEP_1) | instskip(NEXT) | instid1(VALU_DEP_1)
	v_and_b32_e32 v0, 7, v0
	v_mad_co_u64_u32 v[2:3], null, v0, 24, v[6:7]
	v_and_b32_e32 v0, 64, v30
	s_delay_alu instid0(VALU_DEP_1)
	v_cmp_eq_u32_e64 s0, 0, v0
	flat_load_b64 v[4:5], v[2:3] offset:8 scope:SCOPE_SYS
	s_wait_loadcnt_dscnt 0x0
	v_cmp_ne_u64_e32 vcc_lo, -1, v[4:5]
	s_and_b32 s0, vcc_lo, s0
	s_wait_alu 0xfffe
	s_and_b32 exec_lo, exec_lo, s0
	s_cbranch_execz .LBB4_1233
; %bb.1225:
	s_mov_b32 s5, 0
                                        ; implicit-def: $sgpr0
                                        ; implicit-def: $sgpr4
	s_branch .LBB4_1228
.LBB4_1226:                             ;   in Loop: Header=BB4_1228 Depth=1
	flat_load_b64 v[4:5], v[2:3] offset:8 scope:SCOPE_SYS
	s_wait_loadcnt 0x0
	s_wait_alu 0xfffe
	s_and_not1_b32 s4, s4, exec_lo
	s_wait_dscnt 0x0
	v_cmp_eq_u64_e32 vcc_lo, -1, v[4:5]
	s_or_not1_b32 s7, vcc_lo, exec_lo
.LBB4_1227:                             ;   in Loop: Header=BB4_1228 Depth=1
	s_wait_alu 0xfffe
	s_or_b32 exec_lo, exec_lo, s10
	s_delay_alu instid0(SALU_CYCLE_1)
	s_and_b32 s6, exec_lo, s7
	s_wait_alu 0xfffe
	s_or_b32 s3, s6, s3
	s_and_not1_b32 s0, s0, exec_lo
	s_and_b32 s6, s4, exec_lo
	s_wait_alu 0xfffe
	s_or_b32 s0, s0, s6
	s_and_not1_b32 exec_lo, exec_lo, s3
	s_cbranch_execz .LBB4_1231
.LBB4_1228:                             ; =>This Inner Loop Header: Depth=1
	s_wait_alu 0xfffe
	s_cmp_lt_i32 s5, 0x270f
	s_cselect_b32 s6, -1, 0
	s_wait_alu 0xfffe
	s_and_b32 vcc_lo, exec_lo, s6
	s_wait_alu 0xfffe
	s_cbranch_vccnz .LBB4_1230
; %bb.1229:                             ;   in Loop: Header=BB4_1228 Depth=1
	s_trap 2
	ds_load_b64 v[4:5], v0
	s_and_not1_b32 s6, s6, exec_lo
	s_mov_b32 s5, 0
	s_wait_storecnt_dscnt 0x0
	flat_load_b32 v0, v[4:5] scope:SCOPE_SYS
	s_wait_loadcnt_dscnt 0x0
	global_inv scope:SCOPE_SYS
	v_cmp_eq_u32_e32 vcc_lo, 0, v0
	s_and_b32 s7, vcc_lo, exec_lo
	s_wait_alu 0xfffe
	s_or_b32 s6, s6, s7
	s_mov_b32 s7, -1
	s_or_b32 s4, s4, exec_lo
	s_wait_alu 0xfffe
	s_and_saveexec_b32 s10, s6
	s_cbranch_execz .LBB4_1227
	s_branch .LBB4_1226
.LBB4_1230:                             ;   in Loop: Header=BB4_1228 Depth=1
	s_add_co_i32 s5, s5, 1
                                        ; implicit-def: $vgpr0
	s_mov_b32 s7, -1
	s_or_b32 s4, s4, exec_lo
	s_and_saveexec_b32 s10, s6
	s_cbranch_execz .LBB4_1227
	s_branch .LBB4_1226
.LBB4_1231:
	s_or_b32 exec_lo, exec_lo, s3
	s_wait_alu 0xfffe
	s_and_saveexec_b32 s3, s0
	s_wait_alu 0xfffe
	s_xor_b32 s3, exec_lo, s3
	s_cbranch_execz .LBB4_1233
; %bb.1232:
	s_wait_loadcnt 0x0
	s_wait_storecnt 0x0
	ds_store_b32 v0, v0
	s_trap 2
.LBB4_1233:
	s_wait_alu 0xfffe
	s_or_b32 exec_lo, exec_lo, s2
	v_and_b32_e32 v0, 0x2000, v30
	s_mov_b32 s0, exec_lo
	s_delay_alu instid0(VALU_DEP_1)
	v_cmpx_ne_u32_e32 0, v0
	s_cbranch_execz .LBB4_1235
; %bb.1234:
	s_trap 2
	ds_load_b64 v[2:3], v0
	s_wait_dscnt 0x0
	flat_store_b64 v[26:27], v[2:3] offset:16
.LBB4_1235:
	s_wait_alu 0xfffe
	s_or_b32 exec_lo, exec_lo, s0
	v_cmp_ne_u32_e32 vcc_lo, 32, v1
	s_and_b32 exec_lo, exec_lo, vcc_lo
	s_cbranch_execz .LBB4_1253
; %bb.1236:
	s_mov_b32 s0, exec_lo
	v_cmpx_ne_u32_e64 v1, v101
	s_wait_alu 0xfffe
	s_xor_b32 s0, exec_lo, s0
	s_cbranch_execz .LBB4_1251
; %bb.1237:
	v_and_b32_e32 v0, 31, v31
	s_mov_b32 s2, exec_lo
	s_delay_alu instid0(VALU_DEP_1)
	v_cmpx_eq_u32_e32 0, v0
	s_cbranch_execz .LBB4_1250
; %bb.1238:
	s_mov_b32 s4, exec_lo
	s_mov_b32 s3, exec_lo
	s_wait_alu 0xfffe
	v_mbcnt_lo_u32_b32 v0, s4, 0
	s_wait_storecnt 0x0
	s_wait_loadcnt_dscnt 0x0
	global_inv scope:SCOPE_DEV
	v_cmpx_eq_u32_e32 0, v0
	s_cbranch_execz .LBB4_1240
; %bb.1239:
	s_bcnt1_i32_b32 s4, s4
	s_wait_alu 0xfffe
	v_dual_mov_b32 v3, 0 :: v_dual_mov_b32 v2, s4
	s_wait_loadcnt 0x0
	ds_add_u64 v0, v[2:3]
	s_trap 2
.LBB4_1240:
	s_or_b32 exec_lo, exec_lo, s3
	s_trap 2
	ds_load_b64 v[2:3], v0
	s_wait_dscnt 0x0
	global_inv scope:SCOPE_SE
	v_lshrrev_b32_e32 v0, 5, v1
	s_mov_b32 s3, exec_lo
	s_delay_alu instid0(VALU_DEP_1) | instskip(SKIP_2) | instid1(VALU_DEP_1)
	v_add_co_u32 v0, vcc_lo, v38, v0
	s_wait_alu 0xfffd
	v_add_co_ci_u32_e64 v1, null, 0, v39, vcc_lo
	v_cmpx_lt_u64_e64 v[2:3], v[0:1]
	s_cbranch_execz .LBB4_1249
; %bb.1241:
	s_mov_b32 s4, 0
	s_mov_b32 s7, 0
                                        ; implicit-def: $sgpr5
                                        ; implicit-def: $sgpr6
	s_branch .LBB4_1243
.LBB4_1242:                             ;   in Loop: Header=BB4_1243 Depth=1
	s_wait_alu 0xfffe
	s_or_b32 exec_lo, exec_lo, s11
	s_delay_alu instid0(SALU_CYCLE_1)
	s_and_b32 s10, exec_lo, s12
	s_wait_alu 0xfffe
	s_or_b32 s4, s10, s4
	s_and_not1_b32 s5, s5, exec_lo
	s_and_b32 s10, s6, exec_lo
	s_wait_alu 0xfffe
	s_or_b32 s5, s5, s10
	s_and_not1_b32 exec_lo, exec_lo, s4
	s_cbranch_execz .LBB4_1247
.LBB4_1243:                             ; =>This Inner Loop Header: Depth=1
	s_wait_alu 0xfffe
	s_add_co_i32 s7, s7, 1
	s_wait_alu 0xfffe
	s_cmp_lg_u32 s7, 0x2710
	s_cselect_b32 s10, -1, 0
	s_wait_alu 0xfffe
	s_and_b32 vcc_lo, exec_lo, s10
	s_wait_alu 0xfffe
	s_cbranch_vccz .LBB4_1245
; %bb.1244:                             ;   in Loop: Header=BB4_1243 Depth=1
	s_mov_b32 s12, -1
	s_or_b32 s6, s6, exec_lo
	s_and_saveexec_b32 s11, s10
	s_cbranch_execz .LBB4_1242
	s_branch .LBB4_1246
.LBB4_1245:                             ;   in Loop: Header=BB4_1243 Depth=1
	s_trap 2
	ds_load_b64 v[2:3], v0
	s_and_not1_b32 s10, s10, exec_lo
	s_mov_b32 s7, 0
	s_wait_loadcnt_dscnt 0x0
	flat_load_b32 v2, v[2:3] scope:SCOPE_SYS
	s_wait_loadcnt_dscnt 0x0
	global_inv scope:SCOPE_SYS
	v_cmp_eq_u32_e32 vcc_lo, 0, v2
	s_and_b32 s11, vcc_lo, exec_lo
	s_wait_alu 0xfffe
	s_or_b32 s10, s10, s11
	s_mov_b32 s12, -1
	s_or_b32 s6, s6, exec_lo
	s_wait_alu 0xfffe
	s_and_saveexec_b32 s11, s10
	s_cbranch_execz .LBB4_1242
.LBB4_1246:                             ;   in Loop: Header=BB4_1243 Depth=1
	s_sleep 1
	s_trap 2
	ds_load_b64 v[2:3], v0
	s_wait_dscnt 0x0
	global_inv scope:SCOPE_SE
	s_wait_alu 0xfffe
	s_and_not1_b32 s6, s6, exec_lo
	v_cmp_ge_u64_e32 vcc_lo, v[2:3], v[0:1]
	s_or_not1_b32 s12, vcc_lo, exec_lo
	s_branch .LBB4_1242
.LBB4_1247:
	s_or_b32 exec_lo, exec_lo, s4
	s_wait_alu 0xfffe
	s_and_saveexec_b32 s4, s5
	s_wait_alu 0xfffe
	s_xor_b32 s4, exec_lo, s4
	s_cbranch_execz .LBB4_1249
; %bb.1248:
	v_mov_b32_e32 v0, 1
	ds_store_b32 v0, v0
	s_trap 2
.LBB4_1249:
	s_wait_alu 0xfffe
	s_or_b32 exec_lo, exec_lo, s3
	;;#ASMSTART
	s_wakeup
	;;#ASMEND
.LBB4_1250:
	s_wait_alu 0xfffe
	s_or_b32 exec_lo, exec_lo, s2
.LBB4_1251:
	s_wait_alu 0xfffe
	s_and_not1_saveexec_b32 s0, s0
	s_cbranch_execz .LBB4_1253
; %bb.1252:
	s_wait_storecnt 0x0
	s_wait_loadcnt_dscnt 0x0
	global_inv scope:SCOPE_DEV
	s_barrier_signal -1
	s_barrier_wait -1
.LBB4_1253:
	s_wait_alu 0xfffe
	s_or_b32 exec_lo, exec_lo, s1
.LBB4_1254:
	s_wait_alu 0xfffe
	s_and_not1_saveexec_b32 s21, s78
	s_cbranch_execz .LBB4_1256
; %bb.1255:
	s_getpc_b64 s[0:1]
	s_wait_alu 0xfffe
	s_sext_i32_i16 s1, s1
	s_add_co_u32 s0, s0, __PRETTY_FUNCTION__._ZN10PrimitivesI14__hip_fp8_e5m28FuncProdIS0_E12FanSymmetricILi1EELi0E11ProtoSimpleILi2ELi2ELi0ELi2ELi0ELi0EELi0ELb0ELi0ELi0ELi0EEC2EiiPKiS9_PKvPvmhhhP15ncclDevWorkCollP14ncclDevWorkP2pii@rel32@lo+12
	s_wait_alu 0xfffe
	s_add_co_ci_u32 s1, s1, __PRETTY_FUNCTION__._ZN10PrimitivesI14__hip_fp8_e5m28FuncProdIS0_E12FanSymmetricILi1EELi0E11ProtoSimpleILi2ELi2ELi0ELi2ELi0ELi0EELi0ELb0ELi0ELi0ELi0EEC2EiiPKiS9_PKvPvmhhhP15ncclDevWorkCollP14ncclDevWorkP2pii@rel32@hi+24
	s_wait_alu 0xfffe
	v_dual_mov_b32 v0, s0 :: v_dual_mov_b32 v1, s1
	s_getpc_b64 s[2:3]
	s_wait_alu 0xfffe
	s_sext_i32_i16 s3, s3
	s_add_co_u32 s2, s2, __assert_fail@rel32@lo+12
	s_wait_alu 0xfffe
	s_add_co_ci_u32 s3, s3, __assert_fail@rel32@hi+24
	s_wait_alu 0xfffe
	s_swappc_b64 s[30:31], s[2:3]
	; divergent unreachable
.LBB4_1256:
	s_wait_alu 0xfffe
	s_or_b32 exec_lo, exec_lo, s21
	s_clause 0x1f
	scratch_load_b32 v171, off, s33
	scratch_load_b32 v170, off, s33 offset:4
	scratch_load_b32 v169, off, s33 offset:8
	scratch_load_b32 v168, off, s33 offset:12
	scratch_load_b32 v159, off, s33 offset:16
	scratch_load_b32 v158, off, s33 offset:20
	scratch_load_b32 v157, off, s33 offset:24
	scratch_load_b32 v156, off, s33 offset:28
	scratch_load_b32 v155, off, s33 offset:32
	scratch_load_b32 v154, off, s33 offset:36
	scratch_load_b32 v153, off, s33 offset:40
	scratch_load_b32 v152, off, s33 offset:44
	scratch_load_b32 v143, off, s33 offset:48
	scratch_load_b32 v142, off, s33 offset:52
	scratch_load_b32 v141, off, s33 offset:56
	scratch_load_b32 v140, off, s33 offset:60
	scratch_load_b32 v139, off, s33 offset:64
	scratch_load_b32 v138, off, s33 offset:68
	scratch_load_b32 v137, off, s33 offset:72
	scratch_load_b32 v136, off, s33 offset:76
	scratch_load_b32 v127, off, s33 offset:80
	scratch_load_b32 v126, off, s33 offset:84
	scratch_load_b32 v125, off, s33 offset:88
	scratch_load_b32 v124, off, s33 offset:92
	scratch_load_b32 v123, off, s33 offset:96
	scratch_load_b32 v122, off, s33 offset:100
	scratch_load_b32 v121, off, s33 offset:104
	scratch_load_b32 v120, off, s33 offset:108
	scratch_load_b32 v111, off, s33 offset:112
	scratch_load_b32 v110, off, s33 offset:116
	scratch_load_b32 v109, off, s33 offset:120
	scratch_load_b32 v108, off, s33 offset:124
	s_clause 0x1f
	scratch_load_b32 v107, off, s33 offset:128
	scratch_load_b32 v106, off, s33 offset:132
	;; [unrolled: 1-line block ×32, first 2 shown]
	s_clause 0x3
	scratch_load_b32 v43, off, s33 offset:256
	scratch_load_b32 v42, off, s33 offset:260
	;; [unrolled: 1-line block ×4, first 2 shown]
	v_readlane_b32 s30, v172, 8
	v_readlane_b32 s31, v172, 9
	;; [unrolled: 1-line block ×10, first 2 shown]
	s_mov_b32 s32, s33
	v_readlane_b32 s0, v172, 10
	s_or_saveexec_b32 s1, -1
	scratch_load_b32 v172, off, s33 offset:272 ; 4-byte Folded Reload
	s_wait_alu 0xfffe
	s_mov_b32 exec_lo, s1
	s_mov_b32 s33, s0
	s_wait_loadcnt_dscnt 0x0
	s_wait_alu 0xfffe
	s_setpc_b64 s[30:31]
.Lfunc_end4:
	.size	_ZN12_GLOBAL__N_17runRingI14__hip_fp8_e5m28FuncProdIS1_E11ProtoSimpleILi2ELi2ELi0ELi2ELi0ELi0EELi0ELi0ELi2ELi0EEEviiP15ncclDevWorkColl, .Lfunc_end4-_ZN12_GLOBAL__N_17runRingI14__hip_fp8_e5m28FuncProdIS1_E11ProtoSimpleILi2ELi2ELi0ELi2ELi0ELi0EELi0ELi0ELi2ELi0EEEviiP15ncclDevWorkColl
                                        ; -- End function
	.set .L_ZN12_GLOBAL__N_17runRingI14__hip_fp8_e5m28FuncProdIS1_E11ProtoSimpleILi2ELi2ELi0ELi2ELi0ELi0EELi0ELi0ELi2ELi0EEEviiP15ncclDevWorkColl.num_vgpr, max(184, .L__assert_fail.num_vgpr)
	.set .L_ZN12_GLOBAL__N_17runRingI14__hip_fp8_e5m28FuncProdIS1_E11ProtoSimpleILi2ELi2ELi0ELi2ELi0ELi0EELi0ELi0ELi2ELi0EEEviiP15ncclDevWorkColl.num_agpr, max(0, .L__assert_fail.num_agpr)
	.set .L_ZN12_GLOBAL__N_17runRingI14__hip_fp8_e5m28FuncProdIS1_E11ProtoSimpleILi2ELi2ELi0ELi2ELi0ELi0EELi0ELi0ELi2ELi0EEEviiP15ncclDevWorkColl.numbered_sgpr, max(96, .L__assert_fail.numbered_sgpr)
	.set .L_ZN12_GLOBAL__N_17runRingI14__hip_fp8_e5m28FuncProdIS1_E11ProtoSimpleILi2ELi2ELi0ELi2ELi0ELi0EELi0ELi0ELi2ELi0EEEviiP15ncclDevWorkColl.num_named_barrier, max(0, .L__assert_fail.num_named_barrier)
	.set .L_ZN12_GLOBAL__N_17runRingI14__hip_fp8_e5m28FuncProdIS1_E11ProtoSimpleILi2ELi2ELi0ELi2ELi0ELi0EELi0ELi0ELi2ELi0EEEviiP15ncclDevWorkColl.private_seg_size, 288+max(.L__assert_fail.private_seg_size)
	.set .L_ZN12_GLOBAL__N_17runRingI14__hip_fp8_e5m28FuncProdIS1_E11ProtoSimpleILi2ELi2ELi0ELi2ELi0ELi0EELi0ELi0ELi2ELi0EEEviiP15ncclDevWorkColl.uses_vcc, or(1, .L__assert_fail.uses_vcc)
	.set .L_ZN12_GLOBAL__N_17runRingI14__hip_fp8_e5m28FuncProdIS1_E11ProtoSimpleILi2ELi2ELi0ELi2ELi0ELi0EELi0ELi0ELi2ELi0EEEviiP15ncclDevWorkColl.uses_flat_scratch, or(1, .L__assert_fail.uses_flat_scratch)
	.set .L_ZN12_GLOBAL__N_17runRingI14__hip_fp8_e5m28FuncProdIS1_E11ProtoSimpleILi2ELi2ELi0ELi2ELi0ELi0EELi0ELi0ELi2ELi0EEEviiP15ncclDevWorkColl.has_dyn_sized_stack, or(0, .L__assert_fail.has_dyn_sized_stack)
	.set .L_ZN12_GLOBAL__N_17runRingI14__hip_fp8_e5m28FuncProdIS1_E11ProtoSimpleILi2ELi2ELi0ELi2ELi0ELi0EELi0ELi0ELi2ELi0EEEviiP15ncclDevWorkColl.has_recursion, or(1, .L__assert_fail.has_recursion)
	.set .L_ZN12_GLOBAL__N_17runRingI14__hip_fp8_e5m28FuncProdIS1_E11ProtoSimpleILi2ELi2ELi0ELi2ELi0ELi0EELi0ELi0ELi2ELi0EEEviiP15ncclDevWorkColl.has_indirect_call, or(0, .L__assert_fail.has_indirect_call)
	.section	.AMDGPU.csdata,"",@progbits
; Function info:
; codeLenInByte = 69208
; TotalNumSgprs: 98
; NumVgprs: 184
; ScratchSize: 352
; MemoryBound: 1
	.text
	.p2align	2                               ; -- Begin function _Z51ncclDevFunc_AllReduce_RING_SIMPLE_Prod_f8e5m2_0_0_2v
	.type	_Z51ncclDevFunc_AllReduce_RING_SIMPLE_Prod_f8e5m2_0_0_2v,@function
_Z51ncclDevFunc_AllReduce_RING_SIMPLE_Prod_f8e5m2_0_0_2v: ; @_Z51ncclDevFunc_AllReduce_RING_SIMPLE_Prod_f8e5m2_0_0_2v
; %bb.0:
	s_wait_loadcnt_dscnt 0x0
	s_wait_expcnt 0x0
	s_wait_samplecnt 0x0
	s_wait_bvhcnt 0x0
	s_wait_kmcnt 0x0
	s_mov_b32 s0, s33
	s_mov_b32 s33, s32
	s_or_saveexec_b32 s1, -1
	scratch_store_b32 off, v42, s33 offset:12 ; 4-byte Folded Spill
	s_wait_alu 0xfffe
	s_mov_b32 exec_lo, s1
	v_writelane_b32 v42, s0, 15
	s_add_co_i32 s32, s32, 32
	s_clause 0x2
	scratch_store_b32 off, v40, s33 offset:8
	; meta instruction
	scratch_store_b32 off, v41, s33 offset:4
	; meta instruction
	scratch_store_b32 off, v172, s33
	v_writelane_b32 v42, s34, 0
	v_writelane_b32 v42, s35, 1
	;; [unrolled: 1-line block ×15, first 2 shown]
	s_trap 2
	ds_load_b32 v0, v0
	v_mov_b32_e32 v40, v31
	s_mov_b32 s52, s12
	s_mov_b64 s[50:51], s[8:9]
	s_wait_dscnt 0x0
	v_cmp_gt_i32_e32 vcc_lo, 1, v0
	s_cbranch_vccnz .LBB5_8
; %bb.1:
	v_and_b32_e32 v41, 0x3ff, v40
	s_mov_b32 s53, 0
	s_branch .LBB5_3
.LBB5_2:                                ;   in Loop: Header=BB5_3 Depth=1
	s_wait_alu 0xfffe
	s_or_b32 exec_lo, exec_lo, s54
	s_trap 2
	ds_load_b32 v0, v0
	s_add_co_i32 s53, s53, 1
	s_wait_dscnt 0x0
	s_wait_alu 0xfffe
	v_cmp_lt_i32_e32 vcc_lo, s53, v0
	s_cbranch_vccz .LBB5_8
.LBB5_3:                                ; =>This Inner Loop Header: Depth=1
	s_trap 2
	ds_load_b32 v0, v0
	s_wait_alu 0xfffe
	s_cmp_eq_u32 s53, 0
	s_cbranch_scc1 .LBB5_6
; %bb.4:                                ;   in Loop: Header=BB5_3 Depth=1
	s_trap 2
	s_wait_dscnt 0x0
	ds_load_b32 v1, v0
	s_wait_dscnt 0x0
	v_xor_b32_e32 v1, v1, v0
	s_delay_alu instid0(VALU_DEP_1) | instskip(NEXT) | instid1(VALU_DEP_1)
	v_and_b32_e32 v1, 0xff0000, v1
	v_cmp_eq_u32_e32 vcc_lo, 0, v1
	s_cbranch_vccnz .LBB5_6
; %bb.5:                                ;   in Loop: Header=BB5_3 Depth=1
	s_wait_storecnt 0x0
	s_barrier_signal -1
	s_barrier_wait -1
	global_inv scope:SCOPE_SE
	ds_load_b32 v0, v0
.LBB5_6:                                ;   in Loop: Header=BB5_3 Depth=1
	s_wait_dscnt 0x0
	v_lshrrev_b32_e32 v0, 11, v0
	s_mov_b32 s54, exec_lo
	s_delay_alu instid0(VALU_DEP_1) | instskip(NEXT) | instid1(VALU_DEP_1)
	v_and_b32_e32 v1, 0x1fe0, v0
	v_cmpx_lt_u32_e64 v41, v1
	s_cbranch_execz .LBB5_2
; %bb.7:                                ;   in Loop: Header=BB5_3 Depth=1
	s_mov_b64 s[0:1], src_shared_base
	v_dual_mov_b32 v31, v40 :: v_dual_mov_b32 v0, v41
	s_wait_alu 0xfffe
	v_mov_b32_e32 v3, s1
	s_getpc_b64 s[2:3]
	s_wait_alu 0xfffe
	s_sext_i32_i16 s3, s3
	s_add_co_u32 s2, s2, _ZN12_GLOBAL__N_17runRingI14__hip_fp8_e5m28FuncProdIS1_E11ProtoSimpleILi2ELi2ELi0ELi2ELi0ELi0EELi0ELi0ELi2ELi0EEEviiP15ncclDevWorkColl@rel32@lo+12
	s_wait_alu 0xfffe
	s_add_co_ci_u32 s3, s3, _ZN12_GLOBAL__N_17runRingI14__hip_fp8_e5m28FuncProdIS1_E11ProtoSimpleILi2ELi2ELi0ELi2ELi0ELi0EELi0ELi0ELi2ELi0EEEviiP15ncclDevWorkColl@rel32@hi+24
	s_mov_b64 s[8:9], s[50:51]
	s_mov_b32 s12, s52
	s_wait_alu 0xfffe
	s_swappc_b64 s[30:31], s[2:3]
	s_branch .LBB5_2
.LBB5_8:
	s_clause 0x2
	scratch_load_b32 v172, off, s33
	scratch_load_b32 v41, off, s33 offset:4
	scratch_load_b32 v40, off, s33 offset:8
	v_readlane_b32 s30, v42, 13
	v_readlane_b32 s31, v42, 14
	v_readlane_b32 s54, v42, 12
	v_readlane_b32 s53, v42, 11
	v_readlane_b32 s52, v42, 10
	v_readlane_b32 s51, v42, 9
	v_readlane_b32 s50, v42, 8
	v_readlane_b32 s49, v42, 7
	v_readlane_b32 s48, v42, 6
	v_readlane_b32 s39, v42, 5
	v_readlane_b32 s38, v42, 4
	v_readlane_b32 s37, v42, 3
	v_readlane_b32 s36, v42, 2
	v_readlane_b32 s35, v42, 1
	v_readlane_b32 s34, v42, 0
	s_mov_b32 s32, s33
	v_readlane_b32 s0, v42, 15
	s_or_saveexec_b32 s1, -1
	scratch_load_b32 v42, off, s33 offset:12 ; 4-byte Folded Reload
	s_wait_alu 0xfffe
	s_mov_b32 exec_lo, s1
	s_mov_b32 s33, s0
	s_wait_loadcnt 0x0
	s_wait_alu 0xfffe
	s_setpc_b64 s[30:31]
.Lfunc_end5:
	.size	_Z51ncclDevFunc_AllReduce_RING_SIMPLE_Prod_f8e5m2_0_0_2v, .Lfunc_end5-_Z51ncclDevFunc_AllReduce_RING_SIMPLE_Prod_f8e5m2_0_0_2v
                                        ; -- End function
	.set .L_Z51ncclDevFunc_AllReduce_RING_SIMPLE_Prod_f8e5m2_0_0_2v.num_vgpr, max(173, .L_ZN12_GLOBAL__N_17runRingI14__hip_fp8_e5m28FuncProdIS1_E11ProtoSimpleILi2ELi2ELi0ELi2ELi0ELi0EELi0ELi0ELi2ELi0EEEviiP15ncclDevWorkColl.num_vgpr)
	.set .L_Z51ncclDevFunc_AllReduce_RING_SIMPLE_Prod_f8e5m2_0_0_2v.num_agpr, max(0, .L_ZN12_GLOBAL__N_17runRingI14__hip_fp8_e5m28FuncProdIS1_E11ProtoSimpleILi2ELi2ELi0ELi2ELi0ELi0EELi0ELi0ELi2ELi0EEEviiP15ncclDevWorkColl.num_agpr)
	.set .L_Z51ncclDevFunc_AllReduce_RING_SIMPLE_Prod_f8e5m2_0_0_2v.numbered_sgpr, max(55, .L_ZN12_GLOBAL__N_17runRingI14__hip_fp8_e5m28FuncProdIS1_E11ProtoSimpleILi2ELi2ELi0ELi2ELi0ELi0EELi0ELi0ELi2ELi0EEEviiP15ncclDevWorkColl.numbered_sgpr)
	.set .L_Z51ncclDevFunc_AllReduce_RING_SIMPLE_Prod_f8e5m2_0_0_2v.num_named_barrier, max(0, .L_ZN12_GLOBAL__N_17runRingI14__hip_fp8_e5m28FuncProdIS1_E11ProtoSimpleILi2ELi2ELi0ELi2ELi0ELi0EELi0ELi0ELi2ELi0EEEviiP15ncclDevWorkColl.num_named_barrier)
	.set .L_Z51ncclDevFunc_AllReduce_RING_SIMPLE_Prod_f8e5m2_0_0_2v.private_seg_size, 32+max(.L_ZN12_GLOBAL__N_17runRingI14__hip_fp8_e5m28FuncProdIS1_E11ProtoSimpleILi2ELi2ELi0ELi2ELi0ELi0EELi0ELi0ELi2ELi0EEEviiP15ncclDevWorkColl.private_seg_size)
	.set .L_Z51ncclDevFunc_AllReduce_RING_SIMPLE_Prod_f8e5m2_0_0_2v.uses_vcc, or(1, .L_ZN12_GLOBAL__N_17runRingI14__hip_fp8_e5m28FuncProdIS1_E11ProtoSimpleILi2ELi2ELi0ELi2ELi0ELi0EELi0ELi0ELi2ELi0EEEviiP15ncclDevWorkColl.uses_vcc)
	.set .L_Z51ncclDevFunc_AllReduce_RING_SIMPLE_Prod_f8e5m2_0_0_2v.uses_flat_scratch, or(1, .L_ZN12_GLOBAL__N_17runRingI14__hip_fp8_e5m28FuncProdIS1_E11ProtoSimpleILi2ELi2ELi0ELi2ELi0ELi0EELi0ELi0ELi2ELi0EEEviiP15ncclDevWorkColl.uses_flat_scratch)
	.set .L_Z51ncclDevFunc_AllReduce_RING_SIMPLE_Prod_f8e5m2_0_0_2v.has_dyn_sized_stack, or(0, .L_ZN12_GLOBAL__N_17runRingI14__hip_fp8_e5m28FuncProdIS1_E11ProtoSimpleILi2ELi2ELi0ELi2ELi0ELi0EELi0ELi0ELi2ELi0EEEviiP15ncclDevWorkColl.has_dyn_sized_stack)
	.set .L_Z51ncclDevFunc_AllReduce_RING_SIMPLE_Prod_f8e5m2_0_0_2v.has_recursion, or(1, .L_ZN12_GLOBAL__N_17runRingI14__hip_fp8_e5m28FuncProdIS1_E11ProtoSimpleILi2ELi2ELi0ELi2ELi0ELi0EELi0ELi0ELi2ELi0EEEviiP15ncclDevWorkColl.has_recursion)
	.set .L_Z51ncclDevFunc_AllReduce_RING_SIMPLE_Prod_f8e5m2_0_0_2v.has_indirect_call, or(0, .L_ZN12_GLOBAL__N_17runRingI14__hip_fp8_e5m28FuncProdIS1_E11ProtoSimpleILi2ELi2ELi0ELi2ELi0ELi0EELi0ELi0ELi2ELi0EEEviiP15ncclDevWorkColl.has_indirect_call)
	.section	.AMDGPU.csdata,"",@progbits
; Function info:
; codeLenInByte = 736
; TotalNumSgprs: 98
; NumVgprs: 184
; ScratchSize: 384
; MemoryBound: 0
	.text
	.p2align	2                               ; -- Begin function _ZN12_GLOBAL__N_17runRingI14__hip_fp8_e5m28FuncProdIS1_E11ProtoSimpleILi2ELi2ELi0ELi4ELi0ELi0EELi0ELi0ELi4ELi0EEEviiP15ncclDevWorkColl
	.type	_ZN12_GLOBAL__N_17runRingI14__hip_fp8_e5m28FuncProdIS1_E11ProtoSimpleILi2ELi2ELi0ELi4ELi0ELi0EELi0ELi0ELi4ELi0EEEviiP15ncclDevWorkColl,@function
_ZN12_GLOBAL__N_17runRingI14__hip_fp8_e5m28FuncProdIS1_E11ProtoSimpleILi2ELi2ELi0ELi4ELi0ELi0EELi0ELi0ELi4ELi0EEEviiP15ncclDevWorkColl: ; @_ZN12_GLOBAL__N_17runRingI14__hip_fp8_e5m28FuncProdIS1_E11ProtoSimpleILi2ELi2ELi0ELi4ELi0ELi0EELi0ELi0ELi4ELi0EEEviiP15ncclDevWorkColl
; %bb.0:
	s_wait_loadcnt_dscnt 0x0
	s_wait_expcnt 0x0
	s_wait_samplecnt 0x0
	s_wait_bvhcnt 0x0
	s_wait_kmcnt 0x0
	s_mov_b32 s0, s33
	s_mov_b32 s33, s32
	s_or_saveexec_b32 s1, -1
	scratch_store_b32 off, v175, s33 offset:284 ; 4-byte Folded Spill
	s_wait_alu 0xfffe
	s_mov_b32 exec_lo, s1
	v_writelane_b32 v175, s0, 11
	s_addk_co_i32 s32, 0x130
	s_clause 0x1f
	scratch_store_b32 off, v40, s33 offset:280
	; meta instruction
	scratch_store_b32 off, v41, s33 offset:276
	; meta instruction
	;; [unrolled: 2-line block ×31, first 2 shown]
	scratch_store_b32 off, v95, s33 offset:156
	s_clause 0x1f
	scratch_store_b32 off, v104, s33 offset:152
	; meta instruction
	scratch_store_b32 off, v105, s33 offset:148
	; meta instruction
	;; [unrolled: 2-line block ×31, first 2 shown]
	scratch_store_b32 off, v159, s33 offset:28
	s_clause 0x6
	scratch_store_b32 off, v168, s33 offset:24
	; meta instruction
	scratch_store_b32 off, v169, s33 offset:20
	; meta instruction
	;; [unrolled: 2-line block ×6, first 2 shown]
	scratch_store_b32 off, v174, s33
	v_writelane_b32 v175, s34, 0
	v_writelane_b32 v175, s35, 1
	;; [unrolled: 1-line block ×11, first 2 shown]
	s_trap 2
	flat_load_b32 v7, v[2:3]
	ds_load_b32 v6, v0
	s_mov_b32 s0, exec_lo
                                        ; implicit-def: $vgpr14_vgpr15
                                        ; implicit-def: $vgpr28_vgpr29
                                        ; implicit-def: $vgpr4_vgpr5
	s_wait_dscnt 0x0
	v_readfirstlane_b32 s72, v6
	s_wait_loadcnt 0x0
	v_and_b32_e32 v8, 0xff, v7
	s_delay_alu instid0(VALU_DEP_1)
	v_cmpx_ne_u32_e64 v6, v8
	s_wait_alu 0xfffe
	s_xor_b32 s0, exec_lo, s0
	s_cbranch_execz .LBB6_6
; %bb.1:
	v_bfe_u32 v9, v7, 8, 8
	v_not_b32_e32 v8, v8
	s_mov_b32 s1, exec_lo
                                        ; implicit-def: $vgpr14_vgpr15
                                        ; implicit-def: $vgpr28_vgpr29
                                        ; implicit-def: $vgpr4_vgpr5
	s_delay_alu instid0(VALU_DEP_2)
	v_cmpx_ne_u32_e64 v6, v9
	s_wait_alu 0xfffe
	s_xor_b32 s1, exec_lo, s1
	s_cbranch_execz .LBB6_3
; %bb.2:
	s_clause 0x1
	flat_load_b128 v[9:12], v[2:3] offset:72
	flat_load_b64 v[4:5], v[2:3] offset:96
	v_add_nc_u32_e32 v6, v6, v8
                                        ; implicit-def: $vgpr8
	s_wait_loadcnt_dscnt 0x0
	v_lshrrev_b64 v[14:15], 12, v[4:5]
	v_dual_mov_b32 v4, v11 :: v_dual_mov_b32 v5, v12
	s_delay_alu instid0(VALU_DEP_3) | instskip(SKIP_2) | instid1(VALU_DEP_3)
	v_ashrrev_i32_e32 v7, 31, v6
	v_mad_co_u64_u32 v[28:29], null, v11, v6, v[9:10]
	v_mul_lo_u32 v6, v12, v6
                                        ; implicit-def: $vgpr9
	v_mul_lo_u32 v7, v11, v7
	s_delay_alu instid0(VALU_DEP_1)
	v_add3_u32 v29, v6, v29, v7
.LBB6_3:
	s_wait_alu 0xfffe
	s_and_not1_saveexec_b32 s1, s1
	s_cbranch_execz .LBB6_5
; %bb.4:
	s_clause 0x1
	flat_load_b128 v[10:13], v[2:3] offset:72
	flat_load_b128 v[4:7], v[2:3] offset:88
	s_wait_loadcnt_dscnt 0x0
	v_add_nc_u32_e32 v6, v9, v8
	s_delay_alu instid0(VALU_DEP_1) | instskip(NEXT) | instid1(VALU_DEP_1)
	v_ashrrev_i32_e32 v8, 31, v6
	v_mul_lo_u32 v8, v12, v8
	v_mad_co_u64_u32 v[28:29], null, v12, v6, v[10:11]
	v_mul_lo_u32 v6, v13, v6
	v_lshrrev_b32_e32 v14, 1, v7
	s_delay_alu instid0(VALU_DEP_2)
	v_add3_u32 v29, v6, v29, v8
.LBB6_5:
	s_wait_alu 0xfffe
	s_or_b32 exec_lo, exec_lo, s1
.LBB6_6:
	s_wait_alu 0xfffe
	s_and_not1_saveexec_b32 s0, s0
	s_cbranch_execz .LBB6_8
; %bb.7:
	s_clause 0x1
	flat_load_b64 v[6:7], v[2:3] offset:96
	flat_load_b64 v[4:5], v[2:3] offset:72
	v_mov_b32_e32 v28, 0
	v_mov_b32_e32 v29, 0
	s_wait_loadcnt_dscnt 0x101
	v_lshlrev_b64_e32 v[14:15], 9, v[6:7]
.LBB6_8:
	s_wait_alu 0xfffe
	s_or_b32 exec_lo, exec_lo, s0
	s_trap 2
	ds_load_b64 v[6:7], v0
	s_mov_b32 s1, 0
	s_mov_b32 s2, exec_lo
	s_wait_dscnt 0x0
	v_cmp_ne_u32_e32 vcc_lo, -1, v6
	s_wait_alu 0xfffd
	v_cndmask_b32_e64 v19, 0, 1, vcc_lo
	v_cmp_ne_u32_e32 vcc_lo, -1, v7
	s_wait_alu 0xfffd
	s_delay_alu instid0(VALU_DEP_2) | instskip(NEXT) | instid1(VALU_DEP_1)
	v_add_co_ci_u32_e64 v8, null, 0, v19, vcc_lo
	v_lshlrev_b32_e32 v6, 1, v8
	s_delay_alu instid0(VALU_DEP_1)
	v_cmpx_le_u32_e64 v6, v1
	s_wait_alu 0xfffe
	s_xor_b32 s78, exec_lo, s2
	s_cbranch_execz .LBB6_1254
; %bb.9:
	s_clause 0x3
	flat_load_b128 v[10:13], v[2:3] offset:16
	flat_load_b64 v[15:16], v[2:3] offset:104
	flat_load_u16 v7, v[2:3] offset:8
	flat_load_b32 v6, v[2:3] offset:4
	s_trap 2
	s_load_b32 s0, s[8:9], 0x0
	v_dual_mov_b32 v9, 0 :: v_dual_mov_b32 v30, 4
	s_wait_kmcnt 0x0
	s_cmp_lt_u32 ttmp9, s0
	s_cselect_b32 s0, 12, 18
	s_wait_alu 0xfffe
	s_add_nc_u64 s[0:1], s[8:9], s[0:1]
	global_load_u16 v20, v9, s[0:1]
	ds_load_b32 v9, v0
	s_mov_b32 s1, exec_lo
	s_wait_dscnt 0x0
	v_readfirstlane_b32 s7, v9
	v_cmpx_ge_i32_e64 v0, v19
	s_cbranch_execz .LBB6_19
; %bb.10:
	v_cmp_ge_u32_e64 s0, v0, v8
                                        ; implicit-def: $vgpr30
	s_wait_alu 0xfffe
	s_and_saveexec_b32 s2, s0
	s_wait_alu 0xfffe
	s_xor_b32 s0, exec_lo, s2
	s_cbranch_execz .LBB6_16
; %bb.11:
	v_cndmask_b32_e64 v9, 0, 1, vcc_lo
	s_mov_b32 s2, exec_lo
	s_delay_alu instid0(VALU_DEP_1) | instskip(NEXT) | instid1(VALU_DEP_1)
	v_sub_nc_u32_e32 v9, v1, v9
	v_cmpx_ge_u32_e64 v0, v9
	s_wait_alu 0xfffe
	s_xor_b32 s2, exec_lo, s2
; %bb.12:
                                        ; implicit-def: $vgpr8
; %bb.13:
	s_wait_alu 0xfffe
	s_or_saveexec_b32 s2, s2
	v_mov_b32_e32 v30, 16
	s_wait_alu 0xfffe
	s_xor_b32 exec_lo, exec_lo, s2
; %bb.14:
	v_sub_nc_u32_e32 v8, v1, v8
	s_delay_alu instid0(VALU_DEP_1)
	v_cmp_lt_i32_e32 vcc_lo, v0, v8
	s_wait_alu 0xfffd
	v_cndmask_b32_e64 v30, 32, 0, vcc_lo
; %bb.15:
	s_or_b32 exec_lo, exec_lo, s2
.LBB6_16:
	s_wait_alu 0xfffe
	s_and_not1_saveexec_b32 s0, s0
; %bb.17:
	v_mov_b32_e32 v30, 8
; %bb.18:
	s_wait_alu 0xfffe
	s_or_b32 exec_lo, exec_lo, s0
.LBB6_19:
	s_wait_alu 0xfffe
	s_or_b32 exec_lo, exec_lo, s1
	v_and_b32_e32 v8, 36, v30
	s_delay_alu instid0(VALU_DEP_1)
	v_cmp_ne_u32_e32 vcc_lo, 0, v8
	v_mov_b32_e32 v8, -1
	s_and_saveexec_b32 s0, vcc_lo
	s_cbranch_execz .LBB6_21
; %bb.20:
	s_trap 2
	ds_load_b32 v8, v0
.LBB6_21:
	s_wait_alu 0xfffe
	s_or_b32 exec_lo, exec_lo, s0
	v_and_b32_e32 v9, 24, v30
	s_mov_b32 s1, exec_lo
	s_delay_alu instid0(VALU_DEP_1)
	v_cmpx_ne_u32_e32 0, v9
	s_cbranch_execz .LBB6_23
; %bb.22:
	s_trap 2
	s_wait_dscnt 0x0
	ds_load_b32 v8, v0
.LBB6_23:
	s_wait_alu 0xfffe
	s_or_b32 exec_lo, exec_lo, s1
	s_wait_loadcnt 0x1
	v_lshrrev_b64 v[17:18], 31, v[6:7]
	v_mov_b32_e32 v54, 0
	v_dual_mov_b32 v55, 0 :: v_dual_mov_b32 v6, 0
	v_mov_b32_e32 v7, 0
                                        ; implicit-def: $vgpr52_vgpr53
                                        ; implicit-def: $vgpr132
                                        ; implicit-def: $vgpr96_vgpr97
                                        ; implicit-def: $vgpr66_vgpr67
                                        ; implicit-def: $vgpr80_vgpr81
                                        ; implicit-def: $vgpr64_vgpr65
	s_delay_alu instid0(VALU_DEP_4)
	v_and_b32_e32 v21, 3, v17
	s_and_saveexec_b32 s0, vcc_lo
	s_cbranch_execz .LBB6_33
; %bb.24:
	s_trap 2
	ds_load_b64 v[6:7], v0
	s_wait_dscnt 0x1
	v_ashrrev_i32_e32 v9, 31, v8
	s_mov_b32 s1, exec_lo
                                        ; implicit-def: $vgpr52_vgpr53
	s_delay_alu instid0(VALU_DEP_1) | instskip(SKIP_2) | instid1(VALU_DEP_2)
	v_lshlrev_b64_e32 v[17:18], 3, v[8:9]
	v_and_b32_e32 v9, 0xffff, v21
	s_wait_dscnt 0x0
	v_add_co_u32 v6, vcc_lo, v6, v17
	s_wait_alu 0xfffd
	s_delay_alu instid0(VALU_DEP_3)
	v_add_co_ci_u32_e64 v7, null, v7, v18, vcc_lo
	flat_load_b64 v[6:7], v[6:7]
	s_wait_loadcnt_dscnt 0x0
	v_mad_co_u64_u32 v[17:18], null, 0xa8, v9, v[6:7]
	flat_load_b32 v6, v[17:18] offset:640
	s_wait_loadcnt_dscnt 0x0
	v_cmpx_eq_u32_e32 1, v6
	s_cbranch_execz .LBB6_26
; %bb.25:
	flat_load_b64 v[52:53], v[17:18] offset:648
	v_or_b32_e32 v30, 0x2000, v30
	s_wait_loadcnt_dscnt 0x0
	flat_load_b64 v[6:7], v[52:53]
	s_trap 2
	s_wait_loadcnt_dscnt 0x0
	ds_store_b64 v0, v[6:7]
	flat_load_b64 v[6:7], v[52:53] offset:8
	s_wait_loadcnt_dscnt 0x0
	ds_store_b64 v0, v[6:7]
	flat_load_b64 v[6:7], v[52:53] offset:16
	s_wait_loadcnt_dscnt 0x0
	ds_store_b64 v0, v[6:7]
.LBB6_26:
	s_wait_alu 0xfffe
	s_or_b32 exec_lo, exec_lo, s1
	flat_load_b64 v[6:7], v[17:18] offset:608
	v_and_b32_e32 v9, 32, v30
	s_mov_b32 s1, exec_lo
                                        ; implicit-def: $vgpr64_vgpr65
	s_wait_loadcnt_dscnt 0x0
	v_add_co_u32 v6, vcc_lo, v6, 3
	s_wait_alu 0xfffd
	v_add_co_ci_u32_e64 v97, null, 0, v7, vcc_lo
	s_delay_alu instid0(VALU_DEP_2)
	v_and_b32_e32 v96, -4, v6
	v_cmpx_ne_u32_e32 0, v9
	s_cbranch_execz .LBB6_28
; %bb.27:
	flat_load_b64 v[64:65], v[17:18] offset:560
	global_wb scope:SCOPE_SYS
	s_wait_storecnt 0x0
	s_wait_loadcnt_dscnt 0x0
	flat_store_b64 v[64:65], v[96:97] scope:SCOPE_SYS
.LBB6_28:
	s_wait_alu 0xfffe
	s_or_b32 exec_lo, exec_lo, s1
	v_add_co_u32 v54, vcc_lo, 0x1f8, v17
	v_dual_mov_b32 v6, 0 :: v_dual_and_b32 v9, 4, v30
	s_wait_alu 0xfffd
	v_add_co_ci_u32_e64 v55, null, 0, v18, vcc_lo
	v_mov_b32_e32 v7, 0
	s_mov_b32 s1, exec_lo
                                        ; implicit-def: $vgpr132
                                        ; implicit-def: $vgpr66_vgpr67
                                        ; implicit-def: $vgpr80_vgpr81
	v_cmpx_ne_u32_e32 0, v9
	s_cbranch_execz .LBB6_32
; %bb.29:
	v_and_b32_e32 v6, 0x800, v30
	s_mov_b32 s2, exec_lo
	s_delay_alu instid0(VALU_DEP_1)
	v_cmpx_eq_u32_e32 0, v6
	s_cbranch_execz .LBB6_31
; %bb.30:
	s_trap 2
	ds_store_b64 v0, v[54:55]
.LBB6_31:
	s_wait_alu 0xfffe
	s_or_b32 exec_lo, exec_lo, s2
	flat_load_b64 v[64:65], v[17:18] offset:552
	v_or_b32_e32 v9, 0x100, v30
	s_wait_loadcnt_dscnt 0x0
	flat_load_b64 v[80:81], v[64:65] scope:SCOPE_SYS
	s_wait_loadcnt_dscnt 0x0
	global_inv scope:SCOPE_SYS
	s_clause 0x2
	flat_load_b64 v[6:7], v[17:18] offset:600
	flat_load_b32 v132, v[17:18] offset:576
	flat_load_b64 v[66:67], v[17:18] offset:520
	s_wait_loadcnt_dscnt 0x202
	v_cmp_eq_u64_e32 vcc_lo, 0, v[6:7]
	s_wait_alu 0xfffd
	v_cndmask_b32_e32 v30, v9, v30, vcc_lo
.LBB6_32:
	s_wait_alu 0xfffe
	s_or_b32 exec_lo, exec_lo, s1
.LBB6_33:
	s_wait_alu 0xfffe
	s_or_b32 exec_lo, exec_lo, s0
	v_and_b32_e32 v9, 24, v30
	s_mov_b32 s0, exec_lo
                                        ; implicit-def: $vgpr68_vgpr69
	s_delay_alu instid0(VALU_DEP_1)
	v_cmpx_ne_u32_e32 0, v9
	s_cbranch_execz .LBB6_41
; %bb.34:
	s_trap 2
	ds_load_b64 v[6:7], v0
	s_wait_dscnt 0x1
	v_ashrrev_i32_e32 v9, 31, v8
	v_or_b32_e32 v17, 0x100, v30
	s_mov_b32 s1, exec_lo
                                        ; implicit-def: $vgpr68_vgpr69
	s_delay_alu instid0(VALU_DEP_2) | instskip(SKIP_1) | instid1(VALU_DEP_1)
	v_lshlrev_b64_e32 v[8:9], 3, v[8:9]
	s_wait_dscnt 0x0
	v_add_co_u32 v6, vcc_lo, v6, v8
	s_wait_alu 0xfffd
	s_delay_alu instid0(VALU_DEP_2)
	v_add_co_ci_u32_e64 v7, null, v7, v9, vcc_lo
	v_and_b32_e32 v8, 0xffff, v21
	flat_load_b64 v[6:7], v[6:7]
	s_wait_loadcnt_dscnt 0x0
	v_mad_co_u64_u32 v[54:55], null, 0xa8, v8, v[6:7]
	flat_load_b128 v[6:9], v[54:55] offset:96
	s_wait_loadcnt_dscnt 0x0
	v_cmp_eq_u64_e32 vcc_lo, 0, v[6:7]
	s_wait_alu 0xfffd
	v_cndmask_b32_e32 v30, v17, v30, vcc_lo
	s_delay_alu instid0(VALU_DEP_1) | instskip(NEXT) | instid1(VALU_DEP_1)
	v_and_b32_e32 v17, 16, v30
	v_cmpx_ne_u32_e32 0, v17
	s_cbranch_execz .LBB6_36
; %bb.35:
	s_clause 0x2
	flat_load_b64 v[64:65], v[54:55] offset:48
	flat_load_b64 v[68:69], v[54:55] offset:120
	;; [unrolled: 1-line block ×3, first 2 shown]
.LBB6_36:
	s_wait_alu 0xfffe
	s_or_b32 exec_lo, exec_lo, s1
	v_add_co_u32 v8, vcc_lo, v8, 3
	v_and_b32_e32 v17, 8, v30
	s_wait_alu 0xfffd
	v_add_co_ci_u32_e64 v97, null, 0, v9, vcc_lo
	s_delay_alu instid0(VALU_DEP_3)
	v_and_b32_e32 v96, -4, v8
	s_mov_b32 s1, exec_lo
	v_cmpx_ne_u32_e32 0, v17
	s_cbranch_execz .LBB6_40
; %bb.37:
	v_and_b32_e32 v8, 0x800, v30
	s_mov_b32 s2, exec_lo
	s_delay_alu instid0(VALU_DEP_1)
	v_cmpx_eq_u32_e32 0, v8
	s_cbranch_execz .LBB6_39
; %bb.38:
	s_trap 2
	ds_store_b64 v0, v[54:55]
.LBB6_39:
	s_wait_alu 0xfffe
	s_or_b32 exec_lo, exec_lo, s2
	s_wait_loadcnt_dscnt 0x202
	flat_load_b64 v[64:65], v[54:55] offset:56
	s_wait_loadcnt_dscnt 0x0
	flat_load_b64 v[80:81], v[64:65] scope:SCOPE_SYS
	s_wait_loadcnt_dscnt 0x0
	global_inv scope:SCOPE_SYS
	s_clause 0x1
	flat_load_b32 v132, v[54:55] offset:72
	flat_load_b64 v[66:67], v[54:55] offset:16
.LBB6_40:
	s_wait_alu 0xfffe
	s_or_b32 exec_lo, exec_lo, s1
.LBB6_41:
	s_wait_alu 0xfffe
	s_or_b32 exec_lo, exec_lo, s0
	v_cmp_eq_u32_e64 s0, 0, v0
	s_and_saveexec_b32 s1, s0
	s_cbranch_execz .LBB6_43
; %bb.42:
	s_wait_dscnt 0x0
	flat_load_b64 v[8:9], v[2:3] offset:32
	ds_store_2addr_b64 v0, v[12:13], v[10:11] offset1:1
	s_trap 2
	s_wait_loadcnt_dscnt 0x1
	ds_store_b64 v0, v[8:9]
	ds_store_b64 v0, v[15:16]
.LBB6_43:
	s_wait_alu 0xfffe
	s_or_b32 exec_lo, exec_lo, s1
	s_wait_loadcnt 0x0
	v_dual_mov_b32 v70, 0 :: v_dual_and_b32 v133, 0xffff, v20
	v_mov_b32_e32 v71, 0
	s_mov_b32 s79, exec_lo
	v_cmpx_lt_i64_e32 0, v[4:5]
	s_cbranch_execz .LBB6_1220
; %bb.44:
	flat_load_b32 v3, v[2:3] offset:4
	s_ashr_i32 s73, s72, 31
	s_add_co_i32 s88, s72, s72
	s_not_b32 s6, s72
	s_wait_dscnt 0x1
	v_dual_mov_b32 v147, 0x88 :: v_dual_and_b32 v8, 31, v31
	v_ashrrev_i32_e32 v9, 31, v0
	s_cmp_gt_i32 s72, 0
	v_lshrrev_b32_e32 v135, 5, v1
	s_wait_alu 0xfffe
	s_cselect_b32 s6, s6, -1
	v_and_b32_e32 v144, 0x1fe0, v1
	s_wait_alu 0xfffe
	s_add_co_i32 s90, s6, s88
	v_cmp_eq_u32_e64 s6, 0, v8
	v_lshrrev_b32_e32 v8, 27, v9
	v_dual_mov_b32 v146, 0x90 :: v_dual_lshlrev_b32 v149, 9, v135
	s_ashr_i32 s10, s7, 31
	v_dual_mov_b32 v70, 0 :: v_dual_lshlrev_b32 v151, 11, v135
	s_delay_alu instid0(VALU_DEP_3)
	v_dual_mov_b32 v71, 0 :: v_dual_add_nc_u32 v8, v0, v8
	s_wait_alu 0xfffe
	s_lshr_b32 s10, s10, 25
	v_subrev_nc_u32_e32 v160, 32, v144
	s_wait_alu 0xfffe
	s_add_co_i32 s7, s7, s10
	v_and_b32_e32 v9, 0xffffffe0, v8
	v_ashrrev_i32_e32 v163, 5, v8
	v_add_nc_u32_e32 v161, 0xfffffe00, v149
	v_and_b32_e32 v86, 0x3ffffe00, v14
	s_ashr_i32 s91, s90, 31
	v_sub_nc_u32_e32 v165, v0, v9
	v_lshlrev_b32_e32 v8, 12, v163
	v_lshlrev_b32_e32 v9, 11, v163
	s_wait_alu 0xfffe
	s_ashr_i32 s92, s7, 7
	s_cmp_gt_i32 s72, 2
	v_ashrrev_i32_e32 v162, 31, v160
	v_lshl_add_u32 v176, v165, 4, v8
	v_dual_mov_b32 v2, 0 :: v_dual_mov_b32 v145, 1
	s_cselect_b32 s93, -1, 0
	s_add_co_i32 s13, s72, 1
	v_ashrrev_i32_e32 v164, 31, v161
	v_sub_nc_u32_e32 v179, v176, v9
	v_dual_mov_b32 v82, 0 :: v_dual_mov_b32 v87, v2
	v_add_co_u32 v166, s7, v160, 32
	v_mov_b32_e32 v83, 0
	v_mad_co_i64_i32 v[84:85], null, v86, s72, 0
	v_cmp_ge_i32_e32 vcc_lo, v0, v1
	s_wait_alu 0xf1ff
	v_add_co_ci_u32_e64 v167, null, 0, v162, s7
	v_add_co_u32 v177, s7, 0x200, v161
	v_cmp_eq_u64_e64 s4, 0, v[68:69]
	v_cmp_ne_u64_e64 s5, 0, v[68:69]
	v_ashrrev_i32_e32 v134, 31, v132
	v_cmp_eq_u32_e64 s1, 32, v1
	v_cmp_ne_u32_e64 s2, 32, v1
	v_cmp_ne_u32_e64 s3, v1, v133
	v_lshlrev_b32_e32 v148, 12, v135
	v_lshlrev_b32_e32 v150, 10, v135
	s_wait_alu 0xf1ff
	v_add_co_ci_u32_e64 v178, null, 0, v164, s7
	v_cmp_gt_i32_e64 s7, 1, v165
	v_cmp_lt_i32_e64 s11, v165, v19
	v_cmp_le_i32_e64 s12, v165, v19
	v_ashrrev_i32_e32 v180, 31, v176
	v_ashrrev_i32_e32 v181, 31, v179
	s_mov_b32 s63, 0
	s_mov_b32 s89, 0x47600000
	s_add_nc_u64 s[74:75], s[72:73], -1
	s_mov_b32 s34, 0
	s_trap 2
	s_wait_loadcnt_dscnt 0x0
	v_and_b32_e32 v3, 1, v3
	s_delay_alu instid0(VALU_DEP_1)
	v_cmp_eq_u32_e64 s10, 1, v3
	s_xor_b32 s94, s10, -1
	s_wait_alu 0xfffe
	s_cmp_ge_i32 s13, s72
	s_cselect_b32 s14, s72, 0
	s_add_co_i32 s95, s72, -2
	s_wait_alu 0xfffe
	s_sub_co_i32 s30, s13, s14
	s_xor_b32 vcc_hi, vcc_lo, -1
	s_ashr_i32 s76, s73, 31
	s_sub_co_i32 s31, 0, s72
	s_wait_alu 0xfffe
	s_ashr_i32 s35, s30, 31
	s_branch .LBB6_47
.LBB6_45:                               ;   in Loop: Header=BB6_47 Depth=1
	s_or_b32 exec_lo, exec_lo, s15
.LBB6_46:                               ;   in Loop: Header=BB6_47 Depth=1
	s_wait_alu 0xfffe
	s_or_b32 exec_lo, exec_lo, s14
	v_add_co_u32 v82, vcc_lo, v82, v84
	s_wait_alu 0xfffd
	v_add_co_ci_u32_e64 v83, null, v83, v85, vcc_lo
	s_delay_alu instid0(VALU_DEP_1)
	v_cmp_ge_i64_e32 vcc_lo, v[82:83], v[4:5]
	s_or_b32 s34, vcc_lo, s34
	s_wait_alu 0xfffe
	s_and_not1_b32 exec_lo, exec_lo, s34
	s_cbranch_execz .LBB6_1219
.LBB6_47:                               ; =>This Loop Header: Depth=1
                                        ;     Child Loop BB6_57 Depth 2
                                        ;       Child Loop BB6_65 Depth 3
                                        ;       Child Loop BB6_89 Depth 3
                                        ;       Child Loop BB6_108 Depth 3
                                        ;       Child Loop BB6_134 Depth 3
                                        ;       Child Loop BB6_139 Depth 3
                                        ;       Child Loop BB6_147 Depth 3
                                        ;       Child Loop BB6_152 Depth 3
                                        ;       Child Loop BB6_161 Depth 3
                                        ;       Child Loop BB6_180 Depth 3
                                        ;     Child Loop BB6_199 Depth 2
                                        ;       Child Loop BB6_205 Depth 3
                                        ;       Child Loop BB6_229 Depth 3
	;; [unrolled: 1-line block ×3, first 2 shown]
                                        ;     Child Loop BB6_271 Depth 2
                                        ;       Child Loop BB6_274 Depth 3
                                        ;         Child Loop BB6_282 Depth 4
                                        ;         Child Loop BB6_310 Depth 4
	;; [unrolled: 1-line block ×9, first 2 shown]
                                        ;       Child Loop BB6_420 Depth 3
                                        ;         Child Loop BB6_426 Depth 4
                                        ;         Child Loop BB6_454 Depth 4
	;; [unrolled: 1-line block ×3, first 2 shown]
                                        ;     Child Loop BB6_495 Depth 2
                                        ;       Child Loop BB6_503 Depth 3
                                        ;       Child Loop BB6_531 Depth 3
                                        ;       Child Loop BB6_550 Depth 3
                                        ;       Child Loop BB6_577 Depth 3
                                        ;       Child Loop BB6_582 Depth 3
                                        ;         Child Loop BB6_583 Depth 4
                                        ;       Child Loop BB6_592 Depth 3
                                        ;       Child Loop BB6_597 Depth 3
                                        ;         Child Loop BB6_598 Depth 4
                                        ;       Child Loop BB6_610 Depth 3
                                        ;       Child Loop BB6_615 Depth 3
	;; [unrolled: 1-line block ×6, first 2 shown]
                                        ;     Child Loop BB6_676 Depth 2
                                        ;       Child Loop BB6_682 Depth 3
                                        ;       Child Loop BB6_710 Depth 3
	;; [unrolled: 1-line block ×3, first 2 shown]
                                        ;     Child Loop BB6_751 Depth 2
                                        ;       Child Loop BB6_754 Depth 3
                                        ;         Child Loop BB6_762 Depth 4
                                        ;         Child Loop BB6_790 Depth 4
	;; [unrolled: 1-line block ×5, first 2 shown]
                                        ;           Child Loop BB6_842 Depth 5
                                        ;         Child Loop BB6_851 Depth 4
                                        ;         Child Loop BB6_856 Depth 4
                                        ;           Child Loop BB6_857 Depth 5
                                        ;         Child Loop BB6_869 Depth 4
                                        ;         Child Loop BB6_874 Depth 4
	;; [unrolled: 1-line block ×6, first 2 shown]
                                        ;       Child Loop BB6_935 Depth 3
                                        ;         Child Loop BB6_941 Depth 4
                                        ;         Child Loop BB6_969 Depth 4
	;; [unrolled: 1-line block ×3, first 2 shown]
                                        ;     Child Loop BB6_1013 Depth 2
                                        ;       Child Loop BB6_1021 Depth 3
                                        ;       Child Loop BB6_1045 Depth 3
	;; [unrolled: 1-line block ×9, first 2 shown]
                                        ;     Child Loop BB6_1153 Depth 2
                                        ;       Child Loop BB6_1159 Depth 3
                                        ;       Child Loop BB6_1183 Depth 3
	;; [unrolled: 1-line block ×3, first 2 shown]
	v_sub_co_u32 v98, vcc_lo, v4, v82
	s_wait_alu 0xfffd
	v_sub_co_ci_u32_e64 v99, null, v5, v83, vcc_lo
	s_mov_b32 s16, exec_lo
	v_cmpx_lt_i64_e64 v[98:99], v[84:85]
	s_cbranch_execz .LBB6_53
; %bb.48:                               ;   in Loop: Header=BB6_47 Depth=1
	v_add_co_u32 v10, vcc_lo, s74, v98
	s_wait_alu 0xfffd
	v_add_co_ci_u32_e64 v11, null, s75, v99, vcc_lo
                                        ; implicit-def: $vgpr8_vgpr9
	s_mov_b32 s13, exec_lo
	v_or_b32_e32 v3, s73, v11
	s_delay_alu instid0(VALU_DEP_1)
	v_cmpx_ne_u64_e32 0, v[2:3]
	s_wait_alu 0xfffe
	s_xor_b32 s17, exec_lo, s13
	s_cbranch_execz .LBB6_50
; %bb.49:                               ;   in Loop: Header=BB6_47 Depth=1
	s_mov_b32 s77, s76
	v_ashrrev_i32_e32 v3, 31, v11
	s_wait_alu 0xfffe
	s_add_nc_u64 s[14:15], s[72:73], s[76:77]
	s_wait_alu 0xfffe
	s_xor_b64 s[14:15], s[14:15], s[76:77]
	v_add_co_u32 v8, vcc_lo, v10, v3
	s_wait_alu 0xfffe
	s_cvt_f32_u32 s13, s14
	s_cvt_f32_u32 s18, s15
	s_sub_nc_u64 s[20:21], 0, s[14:15]
	s_wait_alu 0xfffd
	v_add_co_ci_u32_e64 v9, null, v11, v3, vcc_lo
	s_wait_alu 0xfffe
	s_fmamk_f32 s13, s18, 0x4f800000, s13
	v_xor_b32_e32 v14, v8, v3
	s_delay_alu instid0(VALU_DEP_2) | instskip(SKIP_3) | instid1(TRANS32_DEP_1)
	v_xor_b32_e32 v15, v9, v3
	s_wait_alu 0xfffe
	v_s_rcp_f32 s13, s13
	v_xor_b32_e32 v3, s76, v3
	s_mul_f32 s13, s13, 0x5f7ffffc
	s_wait_alu 0xfffe
	s_delay_alu instid0(SALU_CYCLE_2) | instskip(SKIP_1) | instid1(SALU_CYCLE_2)
	s_mul_f32 s18, s13, 0x2f800000
	s_wait_alu 0xfffe
	s_trunc_f32 s18, s18
	s_wait_alu 0xfffe
	s_delay_alu instid0(SALU_CYCLE_2) | instskip(SKIP_2) | instid1(SALU_CYCLE_1)
	s_fmamk_f32 s13, s18, 0xcf800000, s13
	s_cvt_u32_f32 s19, s18
	s_wait_alu 0xfffe
	s_cvt_u32_f32 s18, s13
	s_wait_alu 0xfffe
	s_delay_alu instid0(SALU_CYCLE_2)
	s_mul_u64 s[22:23], s[20:21], s[18:19]
	s_wait_alu 0xfffe
	s_mul_hi_u32 s25, s18, s23
	s_mul_i32 s24, s18, s23
	s_mul_hi_u32 s62, s18, s22
	s_mul_i32 s26, s19, s22
	s_wait_alu 0xfffe
	s_add_nc_u64 s[24:25], s[62:63], s[24:25]
	s_mul_hi_u32 s13, s19, s22
	s_mul_hi_u32 s27, s19, s23
	s_mul_i32 s22, s19, s23
	s_wait_alu 0xfffe
	s_add_co_u32 s23, s24, s26
	s_add_co_ci_u32 s62, s25, s13
	s_add_co_ci_u32 s23, s27, 0
	s_wait_alu 0xfffe
	s_add_nc_u64 s[22:23], s[62:63], s[22:23]
	s_wait_alu 0xfffe
	s_add_co_u32 s18, s18, s22
	s_cselect_b32 s13, -1, 0
	s_wait_alu 0xfffe
	s_cmp_lg_u32 s13, 0
	s_add_co_ci_u32 s19, s19, s23
	s_wait_alu 0xfffe
	s_mul_u64 s[20:21], s[20:21], s[18:19]
	s_wait_alu 0xfffe
	s_mul_hi_u32 s23, s18, s21
	s_mul_i32 s22, s18, s21
	s_mul_hi_u32 s62, s18, s20
	s_mul_i32 s24, s19, s20
	s_wait_alu 0xfffe
	s_add_nc_u64 s[22:23], s[62:63], s[22:23]
	s_mul_hi_u32 s13, s19, s20
	s_mul_hi_u32 s25, s19, s21
	s_mul_i32 s20, s19, s21
	s_wait_alu 0xfffe
	s_add_co_u32 s21, s22, s24
	s_add_co_ci_u32 s62, s23, s13
	s_add_co_ci_u32 s21, s25, 0
	s_wait_alu 0xfffe
	s_add_nc_u64 s[20:21], s[62:63], s[20:21]
	s_wait_alu 0xfffe
	s_add_co_u32 s13, s18, s20
	s_cselect_b32 s18, -1, 0
	s_wait_alu 0xfffe
	v_mul_hi_u32 v16, v14, s13
	s_cmp_lg_u32 s18, 0
	v_mad_co_u64_u32 v[10:11], null, v15, s13, 0
	s_add_co_ci_u32 s18, s19, s21
	s_wait_alu 0xfffe
	v_mad_co_u64_u32 v[8:9], null, v14, s18, 0
	v_mad_co_u64_u32 v[12:13], null, v15, s18, 0
	s_delay_alu instid0(VALU_DEP_2) | instskip(SKIP_1) | instid1(VALU_DEP_3)
	v_add_co_u32 v8, vcc_lo, v16, v8
	s_wait_alu 0xfffd
	v_add_co_ci_u32_e64 v9, null, 0, v9, vcc_lo
	s_delay_alu instid0(VALU_DEP_2) | instskip(SKIP_1) | instid1(VALU_DEP_2)
	v_add_co_u32 v8, vcc_lo, v8, v10
	s_wait_alu 0xfffd
	v_add_co_ci_u32_e32 v8, vcc_lo, v9, v11, vcc_lo
	s_wait_alu 0xfffd
	v_add_co_ci_u32_e32 v9, vcc_lo, 0, v13, vcc_lo
	s_delay_alu instid0(VALU_DEP_2) | instskip(SKIP_1) | instid1(VALU_DEP_2)
	v_add_co_u32 v10, vcc_lo, v8, v12
	s_wait_alu 0xfffd
	v_add_co_ci_u32_e64 v11, null, 0, v9, vcc_lo
	s_delay_alu instid0(VALU_DEP_2) | instskip(SKIP_1) | instid1(VALU_DEP_3)
	v_mul_lo_u32 v12, s15, v10
	v_mad_co_u64_u32 v[8:9], null, s14, v10, 0
	v_mul_lo_u32 v13, s14, v11
	s_delay_alu instid0(VALU_DEP_2) | instskip(NEXT) | instid1(VALU_DEP_2)
	v_sub_co_u32 v8, vcc_lo, v14, v8
	v_add3_u32 v9, v9, v13, v12
	v_add_co_u32 v13, s13, v10, 2
	s_wait_alu 0xf1ff
	v_add_co_ci_u32_e64 v14, null, 0, v11, s13
	s_delay_alu instid0(VALU_DEP_3) | instskip(SKIP_3) | instid1(VALU_DEP_3)
	v_sub_nc_u32_e32 v12, v15, v9
	v_sub_co_u32 v16, s13, v8, s14
	s_wait_alu 0xfffd
	v_sub_co_ci_u32_e64 v9, null, v15, v9, vcc_lo
	v_subrev_co_ci_u32_e64 v12, null, s15, v12, vcc_lo
	s_delay_alu instid0(VALU_DEP_3) | instskip(SKIP_1) | instid1(VALU_DEP_2)
	v_cmp_le_u32_e32 vcc_lo, s14, v16
	s_wait_alu 0xf1ff
	v_subrev_co_ci_u32_e64 v12, null, 0, v12, s13
	s_wait_alu 0xfffd
	v_cndmask_b32_e64 v15, 0, -1, vcc_lo
	s_delay_alu instid0(VALU_DEP_2)
	v_cmp_le_u32_e32 vcc_lo, s15, v12
	s_wait_alu 0xfffd
	v_cndmask_b32_e64 v16, 0, -1, vcc_lo
	v_cmp_le_u32_e32 vcc_lo, s14, v8
	s_wait_alu 0xfffd
	v_cndmask_b32_e64 v8, 0, -1, vcc_lo
	;; [unrolled: 3-line block ×3, first 2 shown]
	v_cmp_eq_u32_e32 vcc_lo, s15, v12
	s_wait_alu 0xfffd
	v_cndmask_b32_e32 v12, v16, v15, vcc_lo
	v_add_co_u32 v15, vcc_lo, v10, 1
	s_wait_alu 0xfffd
	v_add_co_ci_u32_e64 v16, null, 0, v11, vcc_lo
	v_cmp_eq_u32_e32 vcc_lo, s15, v9
	s_wait_alu 0xfffd
	v_cndmask_b32_e32 v8, v17, v8, vcc_lo
	v_cmp_ne_u32_e32 vcc_lo, 0, v12
	s_wait_alu 0xfffd
	v_cndmask_b32_e32 v9, v16, v14, vcc_lo
	s_delay_alu instid0(VALU_DEP_3) | instskip(SKIP_2) | instid1(VALU_DEP_2)
	v_cmp_ne_u32_e64 s13, 0, v8
	v_cndmask_b32_e32 v8, v15, v13, vcc_lo
	s_wait_alu 0xf1ff
	v_cndmask_b32_e64 v9, v11, v9, s13
	s_delay_alu instid0(VALU_DEP_2) | instskip(NEXT) | instid1(VALU_DEP_2)
	v_cndmask_b32_e64 v8, v10, v8, s13
                                        ; implicit-def: $vgpr10
	v_xor_b32_e32 v9, v9, v3
	s_delay_alu instid0(VALU_DEP_2) | instskip(NEXT) | instid1(VALU_DEP_1)
	v_xor_b32_e32 v8, v8, v3
	v_sub_co_u32 v8, vcc_lo, v8, v3
	s_wait_alu 0xfffd
	s_delay_alu instid0(VALU_DEP_3)
	v_sub_co_ci_u32_e64 v9, null, v9, v3, vcc_lo
.LBB6_50:                               ;   in Loop: Header=BB6_47 Depth=1
	s_wait_alu 0xfffe
	s_and_not1_saveexec_b32 s13, s17
	s_cbranch_execz .LBB6_52
; %bb.51:                               ;   in Loop: Header=BB6_47 Depth=1
	v_cvt_f32_u32_e32 v3, s72
	s_delay_alu instid0(VALU_DEP_1) | instskip(NEXT) | instid1(TRANS32_DEP_1)
	v_rcp_iflag_f32_e32 v3, v3
	v_mul_f32_e32 v3, 0x4f7ffffe, v3
	s_delay_alu instid0(VALU_DEP_1) | instskip(NEXT) | instid1(VALU_DEP_1)
	v_cvt_u32_f32_e32 v3, v3
	v_mul_lo_u32 v8, s31, v3
	s_delay_alu instid0(VALU_DEP_1) | instskip(NEXT) | instid1(VALU_DEP_1)
	v_mul_hi_u32 v8, v3, v8
	v_add_nc_u32_e32 v3, v3, v8
	s_delay_alu instid0(VALU_DEP_1) | instskip(NEXT) | instid1(VALU_DEP_1)
	v_mul_hi_u32 v3, v10, v3
	v_mul_lo_u32 v8, v3, s72
	v_add_nc_u32_e32 v9, 1, v3
	s_delay_alu instid0(VALU_DEP_2) | instskip(NEXT) | instid1(VALU_DEP_1)
	v_sub_nc_u32_e32 v8, v10, v8
	v_subrev_nc_u32_e32 v10, s72, v8
	v_cmp_le_u32_e32 vcc_lo, s72, v8
	s_wait_alu 0xfffd
	s_delay_alu instid0(VALU_DEP_2) | instskip(NEXT) | instid1(VALU_DEP_1)
	v_dual_cndmask_b32 v8, v8, v10 :: v_dual_cndmask_b32 v3, v3, v9
	v_cmp_le_u32_e32 vcc_lo, s72, v8
	s_delay_alu instid0(VALU_DEP_2) | instskip(SKIP_1) | instid1(VALU_DEP_1)
	v_add_nc_u32_e32 v9, 1, v3
	s_wait_alu 0xfffd
	v_dual_cndmask_b32 v8, v3, v9 :: v_dual_mov_b32 v9, v2
.LBB6_52:                               ;   in Loop: Header=BB6_47 Depth=1
	s_wait_alu 0xfffe
	s_or_b32 exec_lo, exec_lo, s13
	s_delay_alu instid0(VALU_DEP_1) | instskip(SKIP_2) | instid1(VALU_DEP_2)
	v_add_co_u32 v3, vcc_lo, v8, 15
	s_wait_alu 0xfffd
	v_add_co_ci_u32_e64 v87, null, 0, v9, vcc_lo
	v_and_b32_e32 v86, -16, v3
.LBB6_53:                               ;   in Loop: Header=BB6_47 Depth=1
	s_wait_alu 0xfffe
	s_or_b32 exec_lo, exec_lo, s16
	s_delay_alu instid0(VALU_DEP_2) | instskip(NEXT) | instid1(VALU_DEP_2)
	v_mul_lo_u32 v3, v87, s90
	v_mul_lo_u32 v8, v86, s91
	v_mad_co_u64_u32 v[10:11], null, v86, s90, 0
	v_mov_b32_e32 v21, 0
	s_delay_alu instid0(VALU_DEP_2) | instskip(NEXT) | instid1(VALU_DEP_3)
	v_add3_u32 v11, v11, v8, v3
	v_sub_co_u32 v8, vcc_lo, v98, v10
	s_wait_alu 0xfffd
	s_delay_alu instid0(VALU_DEP_2) | instskip(NEXT) | instid1(VALU_DEP_1)
	v_sub_co_ci_u32_e64 v9, null, v99, v11, vcc_lo
	v_cmp_lt_i64_e32 vcc_lo, v[86:87], v[8:9]
	s_wait_alu 0xfffd
	v_cndmask_b32_e32 v8, v8, v86, vcc_lo
	v_add_co_u32 v182, vcc_lo, v82, v28
	s_wait_alu 0xfffd
	v_add_co_ci_u32_e64 v183, null, v83, v29, vcc_lo
	s_delay_alu instid0(VALU_DEP_3) | instskip(NEXT) | instid1(VALU_DEP_1)
	v_max_i32_e32 v20, 0, v8
	v_add_nc_u32_e32 v3, 31, v20
	v_cmp_lt_i32_e32 vcc_lo, 0, v8
	s_delay_alu instid0(VALU_DEP_2) | instskip(SKIP_1) | instid1(VALU_DEP_1)
	v_lshrrev_b32_e32 v3, 1, v3
	s_and_b32 s13, vcc_hi, vcc_lo
	v_and_b32_e32 v9, 0x3ffffff0, v3
	v_mov_b32_e32 v3, 0
	s_delay_alu instid0(VALU_DEP_2)
	v_max_i32_e32 v8, s92, v9
	s_wait_alu 0xfffe
	s_and_saveexec_b32 s15, s13
	s_cbranch_execz .LBB6_195
; %bb.54:                               ;   in Loop: Header=BB6_47 Depth=1
	v_mov_b32_e32 v21, 0
	s_mov_b32 s18, 1
	s_mov_b32 s17, -1
	s_mov_b32 s16, 0
	s_branch .LBB6_57
.LBB6_55:                               ;   in Loop: Header=BB6_57 Depth=2
	s_wait_alu 0xfffe
	s_or_b32 exec_lo, exec_lo, s14
	v_add_co_u32 v96, vcc_lo, v96, 2
	s_wait_alu 0xfffd
	v_add_co_ci_u32_e64 v97, null, 0, v97, vcc_lo
	global_wb scope:SCOPE_SYS
	s_wait_storecnt 0x0
	s_wait_loadcnt_dscnt 0x0
	flat_store_b64 v[64:65], v[96:97] scope:SCOPE_SYS
.LBB6_56:                               ;   in Loop: Header=BB6_57 Depth=2
	s_wait_alu 0xfffe
	s_or_b32 exec_lo, exec_lo, s13
	v_add_nc_u32_e32 v21, v8, v21
	s_xor_b32 s13, s17, -1
	v_mov_b32_e32 v3, s18
	s_mov_b32 s17, 0
	s_mov_b32 s18, 2
	v_cmp_ge_i32_e32 vcc_lo, v21, v20
	s_wait_alu 0xfffe
	s_or_b32 s13, s13, vcc_lo
	s_wait_alu 0xfffe
	s_and_b32 s13, exec_lo, s13
	s_wait_alu 0xfffe
	s_or_b32 s16, s13, s16
	s_wait_alu 0xfffe
	s_and_not1_b32 exec_lo, exec_lo, s16
	s_cbranch_execz .LBB6_194
.LBB6_57:                               ;   Parent Loop BB6_47 Depth=1
                                        ; =>  This Loop Header: Depth=2
                                        ;       Child Loop BB6_65 Depth 3
                                        ;       Child Loop BB6_89 Depth 3
	;; [unrolled: 1-line block ×9, first 2 shown]
	s_and_saveexec_b32 s13, s0
	s_cbranch_execz .LBB6_59
; %bb.58:                               ;   in Loop: Header=BB6_57 Depth=2
	s_trap 2
	ds_load_b64 v[12:13], v0
	s_wait_dscnt 0x0
	v_add_co_u32 v3, vcc_lo, v12, v182
	s_wait_alu 0xfffd
	v_add_co_ci_u32_e64 v9, null, v13, v183, vcc_lo
	v_ashrrev_i32_e32 v13, 31, v21
	s_delay_alu instid0(VALU_DEP_3) | instskip(SKIP_1) | instid1(VALU_DEP_3)
	v_add_co_u32 v3, vcc_lo, v3, v10
	s_wait_alu 0xfffd
	v_add_co_ci_u32_e64 v9, null, v9, v11, vcc_lo
	s_delay_alu instid0(VALU_DEP_2) | instskip(SKIP_1) | instid1(VALU_DEP_2)
	v_add_co_u32 v12, vcc_lo, v3, v21
	s_wait_alu 0xfffd
	v_add_co_ci_u32_e64 v13, null, v9, v13, vcc_lo
	v_mov_b32_e32 v3, v2
	ds_store_b64 v0, v[12:13]
	ds_store_b64 v0, v[2:3]
.LBB6_59:                               ;   in Loop: Header=BB6_57 Depth=2
	s_wait_alu 0xfffe
	s_or_b32 exec_lo, exec_lo, s13
	v_sub_nc_u32_e32 v3, v20, v21
	v_and_b32_e32 v9, 8, v30
	s_mov_b32 s14, exec_lo
	s_delay_alu instid0(VALU_DEP_2) | instskip(NEXT) | instid1(VALU_DEP_2)
	v_min_i32_e32 v8, v8, v3
	v_cmpx_ne_u32_e32 0, v9
	s_cbranch_execz .LBB6_81
; %bb.60:                               ;   in Loop: Header=BB6_57 Depth=2
	v_add_co_u32 v14, vcc_lo, v80, 8
	s_wait_alu 0xfffd
	v_add_co_ci_u32_e64 v15, null, 0, v81, vcc_lo
	v_add_co_u32 v12, vcc_lo, v96, 2
	s_wait_alu 0xfffd
	v_add_co_ci_u32_e64 v13, null, 0, v97, vcc_lo
	s_mov_b32 s19, exec_lo
	v_cmpx_lt_u64_e64 v[14:15], v[12:13]
	s_cbranch_execz .LBB6_72
; %bb.61:                               ;   in Loop: Header=BB6_57 Depth=2
	v_and_b32_e32 v3, 64, v30
	s_mov_b32 s20, 0
	s_mov_b32 s24, 0
                                        ; implicit-def: $sgpr21
                                        ; implicit-def: $sgpr22
                                        ; implicit-def: $sgpr23
	s_delay_alu instid0(VALU_DEP_1)
	v_cmp_eq_u32_e32 vcc_lo, 0, v3
	s_branch .LBB6_65
.LBB6_62:                               ;   in Loop: Header=BB6_65 Depth=3
	v_add_co_u32 v14, s13, v80, 8
	s_wait_alu 0xf1ff
	v_add_co_ci_u32_e64 v15, null, 0, v81, s13
	s_or_b32 s27, s27, exec_lo
	v_cmp_ge_u64_e64 s13, v[14:15], v[12:13]
	s_or_not1_b32 s26, s13, exec_lo
.LBB6_63:                               ;   in Loop: Header=BB6_65 Depth=3
	s_wait_alu 0xfffe
	s_or_b32 exec_lo, exec_lo, s29
	s_delay_alu instid0(SALU_CYCLE_1)
	s_and_not1_b32 s13, s23, exec_lo
	s_and_b32 s23, s27, exec_lo
	s_and_not1_b32 s22, s22, exec_lo
	s_and_b32 s26, s26, exec_lo
	s_wait_alu 0xfffe
	s_or_b32 s23, s13, s23
	s_or_b32 s22, s22, s26
.LBB6_64:                               ;   in Loop: Header=BB6_65 Depth=3
	s_wait_alu 0xfffe
	s_or_b32 exec_lo, exec_lo, s25
	s_delay_alu instid0(SALU_CYCLE_1)
	s_and_b32 s13, exec_lo, s22
	s_wait_alu 0xfffe
	s_or_b32 s20, s13, s20
	s_and_not1_b32 s13, s21, exec_lo
	s_and_b32 s21, s23, exec_lo
	s_wait_alu 0xfffe
	s_or_b32 s21, s13, s21
	s_and_not1_b32 exec_lo, exec_lo, s20
	s_cbranch_execz .LBB6_69
.LBB6_65:                               ;   Parent Loop BB6_47 Depth=1
                                        ;     Parent Loop BB6_57 Depth=2
                                        ; =>    This Inner Loop Header: Depth=3
	s_sleep 1
	flat_load_b64 v[80:81], v[64:65] scope:SCOPE_SYS
	s_wait_loadcnt_dscnt 0x0
	global_inv scope:SCOPE_SYS
	s_or_b32 s23, s23, exec_lo
	s_or_b32 s22, s22, exec_lo
                                        ; implicit-def: $vgpr3
	s_and_saveexec_b32 s25, vcc_lo
	s_cbranch_execz .LBB6_64
; %bb.66:                               ;   in Loop: Header=BB6_65 Depth=3
	s_wait_alu 0xfffe
	s_cmp_lt_i32 s24, 0x270f
	s_mov_b32 s26, -1
	s_cselect_b32 s28, -1, 0
	s_cmp_gt_i32 s24, 0x270e
	s_cbranch_scc0 .LBB6_68
; %bb.67:                               ;   in Loop: Header=BB6_65 Depth=3
	s_trap 2
	ds_load_b64 v[14:15], v0
	s_wait_alu 0xfffe
	s_and_not1_b32 s24, s28, exec_lo
	s_mov_b32 s27, 0
	s_wait_storecnt 0x0
	s_wait_loadcnt_dscnt 0x0
	flat_load_b32 v3, v[14:15] scope:SCOPE_SYS
	s_wait_loadcnt_dscnt 0x0
	global_inv scope:SCOPE_SYS
	v_cmp_eq_u32_e64 s13, 0, v3
	s_and_b32 s13, s13, exec_lo
	s_wait_alu 0xfffe
	s_or_b32 s28, s24, s13
	s_mov_b32 s24, 0
	s_wait_alu 0xfffe
	s_and_saveexec_b32 s29, s28
	s_cbranch_execz .LBB6_63
	s_branch .LBB6_62
.LBB6_68:                               ;   in Loop: Header=BB6_65 Depth=3
	s_add_co_i32 s24, s24, 1
	s_mov_b32 s27, -1
                                        ; implicit-def: $vgpr3
	s_wait_alu 0xfffe
	s_and_saveexec_b32 s29, s28
	s_cbranch_execz .LBB6_63
	s_branch .LBB6_62
.LBB6_69:                               ;   in Loop: Header=BB6_57 Depth=2
	s_or_b32 exec_lo, exec_lo, s20
	s_wait_alu 0xfffe
	s_xor_b32 s13, s21, -1
	s_wait_alu 0xfffe
	s_and_saveexec_b32 s20, s13
	s_wait_alu 0xfffe
	s_xor_b32 s13, exec_lo, s20
	s_cbranch_execz .LBB6_71
; %bb.70:                               ;   in Loop: Header=BB6_57 Depth=2
	v_or_b32_e32 v30, 64, v30
	s_wait_loadcnt 0x0
	s_wait_storecnt 0x0
	ds_store_b32 v0, v3
	s_trap 2
.LBB6_71:                               ;   in Loop: Header=BB6_57 Depth=2
	s_wait_alu 0xfffe
	s_or_b32 exec_lo, exec_lo, s13
.LBB6_72:                               ;   in Loop: Header=BB6_57 Depth=2
	s_wait_alu 0xfffe
	s_or_b32 exec_lo, exec_lo, s19
	v_and_b32_e32 v3, 0x100, v30
	s_mov_b32 s13, -1
	;;#ASMSTART
	s_wakeup
	;;#ASMEND
                                        ; implicit-def: $vgpr14_vgpr15
	s_delay_alu instid0(VALU_DEP_1)
	v_cmp_ne_u32_e32 vcc_lo, 0, v3
	v_and_b32_e32 v3, 7, v96
	s_and_saveexec_b32 s19, vcc_lo
	s_cbranch_execz .LBB6_76
; %bb.73:                               ;   in Loop: Header=BB6_57 Depth=2
	s_delay_alu instid0(VALU_DEP_1)
	v_mad_co_u64_u32 v[16:17], null, v3, 24, v[6:7]
	v_ashrrev_i32_e32 v9, 31, v8
	flat_load_b32 v14, v[16:17]
	flat_store_b64 v[16:17], v[8:9] offset:8
	s_wait_loadcnt_dscnt 0x1
	v_cmp_eq_u32_e64 s13, 1, v14
	v_cmp_ne_u32_e32 vcc_lo, 1, v14
                                        ; implicit-def: $vgpr14_vgpr15
	s_wait_alu 0xfffe
	s_and_saveexec_b32 s20, s13
	s_cbranch_execz .LBB6_75
; %bb.74:                               ;   in Loop: Header=BB6_57 Depth=2
	flat_load_b32 v14, v[16:17] offset:4 scope:SCOPE_SYS
	s_wait_loadcnt_dscnt 0x0
	v_ashrrev_i32_e32 v15, 31, v14
.LBB6_75:                               ;   in Loop: Header=BB6_57 Depth=2
	s_wait_alu 0xfffe
	s_or_b32 exec_lo, exec_lo, s20
	s_delay_alu instid0(SALU_CYCLE_1)
	s_or_not1_b32 s13, vcc_lo, exec_lo
.LBB6_76:                               ;   in Loop: Header=BB6_57 Depth=2
	s_wait_alu 0xfffe
	s_or_b32 exec_lo, exec_lo, s19
	s_and_saveexec_b32 s19, s13
; %bb.77:                               ;   in Loop: Header=BB6_57 Depth=2
	v_mad_co_i64_i32 v[14:15], null, v3, v132, 0
; %bb.78:                               ;   in Loop: Header=BB6_57 Depth=2
	s_wait_alu 0xfffe
	s_or_b32 exec_lo, exec_lo, s19
	s_delay_alu instid0(VALU_DEP_1) | instskip(SKIP_2) | instid1(VALU_DEP_3)
	v_add_co_u32 v14, vcc_lo, v66, v14
	v_and_b32_e32 v3, 0x2000, v30
	s_wait_alu 0xfffd
	v_add_co_ci_u32_e64 v15, null, v67, v15, vcc_lo
	s_mov_b32 s13, exec_lo
	ds_store_b64 v0, v[14:15] offset:784
	v_cmpx_ne_u32_e32 0, v3
	s_cbranch_execz .LBB6_80
; %bb.79:                               ;   in Loop: Header=BB6_57 Depth=2
	ds_load_b64 v[14:15], v0 offset:872
	s_wait_dscnt 0x0
	v_add_co_u32 v14, vcc_lo, v14, 1
	s_wait_alu 0xfffd
	v_add_co_ci_u32_e64 v15, null, 0, v15, vcc_lo
	ds_store_b64 v0, v[14:15] offset:872
.LBB6_80:                               ;   in Loop: Header=BB6_57 Depth=2
	s_wait_alu 0xfffe
	s_or_b32 exec_lo, exec_lo, s13
	v_dual_mov_b32 v97, v13 :: v_dual_mov_b32 v96, v12
.LBB6_81:                               ;   in Loop: Header=BB6_57 Depth=2
	s_wait_alu 0xfffe
	s_or_b32 exec_lo, exec_lo, s14
	s_and_saveexec_b32 s13, s2
	s_cbranch_execz .LBB6_100
; %bb.82:                               ;   in Loop: Header=BB6_57 Depth=2
	s_and_saveexec_b32 s14, s3
	s_wait_alu 0xfffe
	s_xor_b32 s14, exec_lo, s14
	s_cbranch_execz .LBB6_97
; %bb.83:                               ;   in Loop: Header=BB6_57 Depth=2
	s_and_saveexec_b32 s19, s6
	s_cbranch_execz .LBB6_96
; %bb.84:                               ;   in Loop: Header=BB6_57 Depth=2
	s_mov_b32 s21, exec_lo
	s_mov_b32 s20, exec_lo
	s_wait_alu 0xfffe
	v_mbcnt_lo_u32_b32 v3, s21, 0
	s_wait_storecnt 0x0
	s_wait_loadcnt_dscnt 0x0
	global_inv scope:SCOPE_DEV
	v_cmpx_eq_u32_e32 0, v3
	s_cbranch_execz .LBB6_86
; %bb.85:                               ;   in Loop: Header=BB6_57 Depth=2
	s_bcnt1_i32_b32 s21, s21
	s_wait_alu 0xfffe
	v_dual_mov_b32 v13, v2 :: v_dual_mov_b32 v12, s21
	s_wait_loadcnt 0x0
	ds_add_u64 v0, v[12:13]
	s_trap 2
.LBB6_86:                               ;   in Loop: Header=BB6_57 Depth=2
	s_or_b32 exec_lo, exec_lo, s20
	s_trap 2
	ds_load_b64 v[12:13], v0
	s_wait_dscnt 0x0
	global_inv scope:SCOPE_SE
	v_add_co_u32 v70, vcc_lo, v70, v135
	s_wait_alu 0xfffd
	v_add_co_ci_u32_e64 v71, null, 0, v71, vcc_lo
	s_mov_b32 s20, exec_lo
	v_cmpx_lt_u64_e64 v[12:13], v[70:71]
	s_cbranch_execz .LBB6_95
; %bb.87:                               ;   in Loop: Header=BB6_57 Depth=2
	s_mov_b32 s21, 0
	s_mov_b32 s24, 0
                                        ; implicit-def: $sgpr22
                                        ; implicit-def: $sgpr23
	s_branch .LBB6_89
.LBB6_88:                               ;   in Loop: Header=BB6_89 Depth=3
	s_wait_alu 0xfffe
	s_or_b32 exec_lo, exec_lo, s26
	s_delay_alu instid0(SALU_CYCLE_1)
	s_and_b32 s25, exec_lo, s27
	s_wait_alu 0xfffe
	s_or_b32 s21, s25, s21
	s_and_not1_b32 s22, s22, exec_lo
	s_and_b32 s25, s23, exec_lo
	s_wait_alu 0xfffe
	s_or_b32 s22, s22, s25
	s_and_not1_b32 exec_lo, exec_lo, s21
	s_cbranch_execz .LBB6_93
.LBB6_89:                               ;   Parent Loop BB6_47 Depth=1
                                        ;     Parent Loop BB6_57 Depth=2
                                        ; =>    This Inner Loop Header: Depth=3
	s_wait_alu 0xfffe
	s_add_co_i32 s24, s24, 1
	s_wait_alu 0xfffe
	s_cmp_lg_u32 s24, 0x2710
	s_cselect_b32 s25, -1, 0
	s_wait_alu 0xfffe
	s_and_b32 vcc_lo, exec_lo, s25
	s_wait_alu 0xfffe
	s_cbranch_vccz .LBB6_91
; %bb.90:                               ;   in Loop: Header=BB6_89 Depth=3
	s_mov_b32 s27, -1
	s_or_b32 s23, s23, exec_lo
	s_and_saveexec_b32 s26, s25
	s_cbranch_execz .LBB6_88
	s_branch .LBB6_92
.LBB6_91:                               ;   in Loop: Header=BB6_89 Depth=3
	s_trap 2
	ds_load_b64 v[12:13], v0
	s_and_not1_b32 s25, s25, exec_lo
	s_mov_b32 s24, 0
	s_wait_loadcnt_dscnt 0x0
	flat_load_b32 v3, v[12:13] scope:SCOPE_SYS
	s_wait_loadcnt_dscnt 0x0
	global_inv scope:SCOPE_SYS
	v_cmp_eq_u32_e32 vcc_lo, 0, v3
	s_and_b32 s26, vcc_lo, exec_lo
	s_wait_alu 0xfffe
	s_or_b32 s25, s25, s26
	s_mov_b32 s27, -1
	s_or_b32 s23, s23, exec_lo
	s_wait_alu 0xfffe
	s_and_saveexec_b32 s26, s25
	s_cbranch_execz .LBB6_88
.LBB6_92:                               ;   in Loop: Header=BB6_89 Depth=3
	s_sleep 1
	s_trap 2
	ds_load_b64 v[12:13], v0
	s_wait_dscnt 0x0
	global_inv scope:SCOPE_SE
	s_wait_alu 0xfffe
	s_and_not1_b32 s23, s23, exec_lo
	v_cmp_ge_u64_e32 vcc_lo, v[12:13], v[70:71]
	s_or_not1_b32 s27, vcc_lo, exec_lo
	s_branch .LBB6_88
.LBB6_93:                               ;   in Loop: Header=BB6_57 Depth=2
	s_or_b32 exec_lo, exec_lo, s21
	s_wait_alu 0xfffe
	s_and_saveexec_b32 s21, s22
	s_wait_alu 0xfffe
	s_xor_b32 s21, exec_lo, s21
	s_cbranch_execz .LBB6_95
; %bb.94:                               ;   in Loop: Header=BB6_57 Depth=2
	ds_store_b32 v0, v145
	s_trap 2
.LBB6_95:                               ;   in Loop: Header=BB6_57 Depth=2
	s_wait_alu 0xfffe
	s_or_b32 exec_lo, exec_lo, s20
	;;#ASMSTART
	s_wakeup
	;;#ASMEND
.LBB6_96:                               ;   in Loop: Header=BB6_57 Depth=2
	s_wait_alu 0xfffe
	s_or_b32 exec_lo, exec_lo, s19
.LBB6_97:                               ;   in Loop: Header=BB6_57 Depth=2
	s_wait_alu 0xfffe
	s_and_not1_saveexec_b32 s14, s14
	s_cbranch_execz .LBB6_99
; %bb.98:                               ;   in Loop: Header=BB6_57 Depth=2
	s_wait_storecnt 0x0
	s_wait_loadcnt_dscnt 0x0
	global_inv scope:SCOPE_DEV
	s_barrier_signal -1
	s_barrier_wait -1
.LBB6_99:                               ;   in Loop: Header=BB6_57 Depth=2
	s_wait_alu 0xfffe
	s_or_b32 exec_lo, exec_lo, s14
.LBB6_100:                              ;   in Loop: Header=BB6_57 Depth=2
	s_wait_alu 0xfffe
	s_or_b32 exec_lo, exec_lo, s13
	s_trap 2
	ds_load_b32 v3, v0
	v_and_b32_e32 v9, 0x4000, v30
	s_xor_b32 s13, s1, -1
	s_delay_alu instid0(VALU_DEP_1)
	v_cmp_ne_u32_e32 vcc_lo, 0, v9
	s_wait_alu 0xfffe
	s_and_b32 s14, s13, vcc_lo
	s_wait_alu 0xfffe
	s_and_saveexec_b32 s13, s14
	s_cbranch_execz .LBB6_119
; %bb.101:                              ;   in Loop: Header=BB6_57 Depth=2
	s_and_saveexec_b32 s14, s3
	s_wait_alu 0xfffe
	s_xor_b32 s14, exec_lo, s14
	s_cbranch_execz .LBB6_116
; %bb.102:                              ;   in Loop: Header=BB6_57 Depth=2
	s_and_saveexec_b32 s19, s6
	s_cbranch_execz .LBB6_115
; %bb.103:                              ;   in Loop: Header=BB6_57 Depth=2
	s_mov_b32 s21, exec_lo
	s_mov_b32 s20, exec_lo
	s_wait_alu 0xfffe
	v_mbcnt_lo_u32_b32 v9, s21, 0
	s_wait_storecnt 0x0
	s_wait_loadcnt_dscnt 0x0
	global_inv scope:SCOPE_DEV
	v_cmpx_eq_u32_e32 0, v9
	s_cbranch_execz .LBB6_105
; %bb.104:                              ;   in Loop: Header=BB6_57 Depth=2
	s_bcnt1_i32_b32 s21, s21
	s_wait_alu 0xfffe
	v_dual_mov_b32 v13, v2 :: v_dual_mov_b32 v12, s21
	s_wait_loadcnt 0x0
	ds_add_u64 v0, v[12:13]
	s_trap 2
.LBB6_105:                              ;   in Loop: Header=BB6_57 Depth=2
	s_or_b32 exec_lo, exec_lo, s20
	s_trap 2
	ds_load_b64 v[12:13], v0
	s_wait_dscnt 0x0
	global_inv scope:SCOPE_SE
	v_add_co_u32 v70, vcc_lo, v70, v135
	s_wait_alu 0xfffd
	v_add_co_ci_u32_e64 v71, null, 0, v71, vcc_lo
	s_mov_b32 s20, exec_lo
	v_cmpx_lt_u64_e64 v[12:13], v[70:71]
	s_cbranch_execz .LBB6_114
; %bb.106:                              ;   in Loop: Header=BB6_57 Depth=2
	s_mov_b32 s21, 0
	s_mov_b32 s24, 0
                                        ; implicit-def: $sgpr22
                                        ; implicit-def: $sgpr23
	s_branch .LBB6_108
.LBB6_107:                              ;   in Loop: Header=BB6_108 Depth=3
	s_wait_alu 0xfffe
	s_or_b32 exec_lo, exec_lo, s26
	s_delay_alu instid0(SALU_CYCLE_1)
	s_and_b32 s25, exec_lo, s27
	s_wait_alu 0xfffe
	s_or_b32 s21, s25, s21
	s_and_not1_b32 s22, s22, exec_lo
	s_and_b32 s25, s23, exec_lo
	s_wait_alu 0xfffe
	s_or_b32 s22, s22, s25
	s_and_not1_b32 exec_lo, exec_lo, s21
	s_cbranch_execz .LBB6_112
.LBB6_108:                              ;   Parent Loop BB6_47 Depth=1
                                        ;     Parent Loop BB6_57 Depth=2
                                        ; =>    This Inner Loop Header: Depth=3
	s_wait_alu 0xfffe
	s_add_co_i32 s24, s24, 1
	s_wait_alu 0xfffe
	s_cmp_lg_u32 s24, 0x2710
	s_cselect_b32 s25, -1, 0
	s_wait_alu 0xfffe
	s_and_b32 vcc_lo, exec_lo, s25
	s_wait_alu 0xfffe
	s_cbranch_vccz .LBB6_110
; %bb.109:                              ;   in Loop: Header=BB6_108 Depth=3
	s_mov_b32 s27, -1
	s_or_b32 s23, s23, exec_lo
	s_and_saveexec_b32 s26, s25
	s_cbranch_execz .LBB6_107
	s_branch .LBB6_111
.LBB6_110:                              ;   in Loop: Header=BB6_108 Depth=3
	s_trap 2
	ds_load_b64 v[12:13], v0
	s_and_not1_b32 s25, s25, exec_lo
	s_mov_b32 s24, 0
	s_wait_loadcnt_dscnt 0x0
	flat_load_b32 v9, v[12:13] scope:SCOPE_SYS
	s_wait_loadcnt_dscnt 0x0
	global_inv scope:SCOPE_SYS
	v_cmp_eq_u32_e32 vcc_lo, 0, v9
	s_and_b32 s26, vcc_lo, exec_lo
	s_wait_alu 0xfffe
	s_or_b32 s25, s25, s26
	s_mov_b32 s27, -1
	s_or_b32 s23, s23, exec_lo
	s_wait_alu 0xfffe
	s_and_saveexec_b32 s26, s25
	s_cbranch_execz .LBB6_107
.LBB6_111:                              ;   in Loop: Header=BB6_108 Depth=3
	s_sleep 1
	s_trap 2
	ds_load_b64 v[12:13], v0
	s_wait_dscnt 0x0
	global_inv scope:SCOPE_SE
	s_wait_alu 0xfffe
	s_and_not1_b32 s23, s23, exec_lo
	v_cmp_ge_u64_e32 vcc_lo, v[12:13], v[70:71]
	s_or_not1_b32 s27, vcc_lo, exec_lo
	s_branch .LBB6_107
.LBB6_112:                              ;   in Loop: Header=BB6_57 Depth=2
	s_or_b32 exec_lo, exec_lo, s21
	s_wait_alu 0xfffe
	s_and_saveexec_b32 s21, s22
	s_wait_alu 0xfffe
	s_xor_b32 s21, exec_lo, s21
	s_cbranch_execz .LBB6_114
; %bb.113:                              ;   in Loop: Header=BB6_57 Depth=2
	ds_store_b32 v0, v145
	s_trap 2
.LBB6_114:                              ;   in Loop: Header=BB6_57 Depth=2
	s_wait_alu 0xfffe
	s_or_b32 exec_lo, exec_lo, s20
	;;#ASMSTART
	s_wakeup
	;;#ASMEND
.LBB6_115:                              ;   in Loop: Header=BB6_57 Depth=2
	s_wait_alu 0xfffe
	s_or_b32 exec_lo, exec_lo, s19
.LBB6_116:                              ;   in Loop: Header=BB6_57 Depth=2
	s_wait_alu 0xfffe
	s_and_not1_saveexec_b32 s14, s14
	s_cbranch_execz .LBB6_118
; %bb.117:                              ;   in Loop: Header=BB6_57 Depth=2
	s_wait_storecnt 0x0
	s_wait_loadcnt_dscnt 0x0
	global_inv scope:SCOPE_DEV
	s_barrier_signal -1
	s_barrier_wait -1
.LBB6_118:                              ;   in Loop: Header=BB6_57 Depth=2
	s_wait_alu 0xfffe
	s_or_b32 exec_lo, exec_lo, s14
.LBB6_119:                              ;   in Loop: Header=BB6_57 Depth=2
	s_wait_alu 0xfffe
	s_or_b32 exec_lo, exec_lo, s13
	s_trap 2
	ds_load_b64 v[12:13], v0
	s_wait_dscnt 0x0
	v_cmp_eq_u64_e32 vcc_lo, 0, v[12:13]
	s_cbranch_vccnz .LBB6_127
; %bb.120:                              ;   in Loop: Header=BB6_57 Depth=2
	s_trap 2
	ds_load_b64 v[14:15], v0
	s_wait_dscnt 0x0
	v_cmp_eq_u64_e32 vcc_lo, 0, v[14:15]
	s_cbranch_vccnz .LBB6_127
; %bb.121:                              ;   in Loop: Header=BB6_57 Depth=2
	s_mov_b32 s13, -1
	s_and_saveexec_b32 s14, s7
	s_cbranch_execz .LBB6_123
; %bb.122:                              ;   in Loop: Header=BB6_57 Depth=2
	ds_load_b32 v9, v0 offset:720
	s_wait_dscnt 0x0
	v_and_b32_e32 v9, 15, v9
	s_delay_alu instid0(VALU_DEP_1)
	v_cmp_eq_u32_e32 vcc_lo, 0, v9
	s_or_not1_b32 s13, vcc_lo, exec_lo
.LBB6_123:                              ;   in Loop: Header=BB6_57 Depth=2
	s_wait_alu 0xfffe
	s_or_b32 exec_lo, exec_lo, s14
	s_and_saveexec_b32 s14, s11
	s_cbranch_execz .LBB6_125
; %bb.124:                              ;   in Loop: Header=BB6_57 Depth=2
	ds_load_b32 v9, v0 offset:784
	s_wait_dscnt 0x0
	v_and_b32_e32 v9, 15, v9
	s_delay_alu instid0(VALU_DEP_1)
	v_cmp_eq_u32_e32 vcc_lo, 0, v9
	s_and_b32 s19, s13, vcc_lo
	s_and_not1_b32 s13, s13, exec_lo
	s_wait_alu 0xfffe
	s_and_b32 s19, s19, exec_lo
	s_wait_alu 0xfffe
	s_or_b32 s13, s13, s19
.LBB6_125:                              ;   in Loop: Header=BB6_57 Depth=2
	s_wait_alu 0xfffe
	s_or_b32 exec_lo, exec_lo, s14
	v_cmp_eq_u32_e32 vcc_lo, 0, v3
	s_xor_b32 s13, s13, -1
	v_mov_b32_e32 v17, v0
	s_wait_alu 0xfffe
	v_cndmask_b32_e64 v9, 0, 1, s13
	v_mov_b32_e32 v25, v163
	s_wait_alu 0xfffd
	v_cndmask_b32_e32 v3, 0, v8, vcc_lo
	s_mov_b32 s13, -1
	v_cmp_ne_u32_e32 vcc_lo, 0, v9
	s_delay_alu instid0(VALU_DEP_2)
	v_dual_mov_b32 v9, 0 :: v_dual_mov_b32 v16, v3
	s_cbranch_vccz .LBB6_132
; %bb.126:                              ;   in Loop: Header=BB6_57 Depth=2
	s_wait_alu 0xfffe
	s_and_saveexec_b32 s14, s13
	s_cbranch_execnz .LBB6_145
	s_branch .LBB6_153
.LBB6_127:                              ;   in Loop: Header=BB6_57 Depth=2
	s_mov_b32 s13, 0
	s_and_saveexec_b32 s14, s2
	s_cbranch_execnz .LBB6_154
.LBB6_128:                              ;   in Loop: Header=BB6_57 Depth=2
	s_wait_alu 0xfffe
	s_or_b32 exec_lo, exec_lo, s14
                                        ; implicit-def: $vgpr3
	s_and_saveexec_b32 s14, s10
	s_wait_alu 0xfffe
	s_xor_b32 s14, exec_lo, s14
	s_cbranch_execz .LBB6_172
.LBB6_129:                              ;   in Loop: Header=BB6_57 Depth=2
	v_and_b32_e32 v3, 16, v30
	s_delay_alu instid0(VALU_DEP_1)
	v_cmp_ne_u32_e32 vcc_lo, 0, v3
	v_and_b32_e32 v3, 16, v30
	s_and_b32 s19, vcc_lo, s13
	s_wait_alu 0xfffe
	s_and_saveexec_b32 s13, s19
	s_cbranch_execz .LBB6_131
; %bb.130:                              ;   in Loop: Header=BB6_57 Depth=2
	v_mov_b32_e32 v3, 1
	global_wb scope:SCOPE_SYS
	s_wait_storecnt 0x0
	s_wait_loadcnt_dscnt 0x0
	global_inv scope:SCOPE_SYS
.LBB6_131:                              ;   in Loop: Header=BB6_57 Depth=2
	s_wait_alu 0xfffe
	s_or_b32 exec_lo, exec_lo, s13
	s_and_not1_saveexec_b32 s13, s14
	s_cbranch_execz .LBB6_191
	s_branch .LBB6_173
.LBB6_132:                              ;   in Loop: Header=BB6_57 Depth=2
	v_ashrrev_i32_e32 v9, 31, v3
	s_mov_b32 s13, exec_lo
	s_delay_alu instid0(VALU_DEP_1) | instskip(NEXT) | instid1(VALU_DEP_1)
	v_lshrrev_b32_e32 v9, 20, v9
	v_add_nc_u32_e32 v9, v3, v9
	s_delay_alu instid0(VALU_DEP_1) | instskip(NEXT) | instid1(VALU_DEP_1)
	v_ashrrev_i32_e32 v9, 12, v9
	v_sub_nc_u32_e32 v22, v9, v163
	s_delay_alu instid0(VALU_DEP_1)
	v_cmpx_lt_i32_e32 0, v22
	s_cbranch_execz .LBB6_136
; %bb.133:                              ;   in Loop: Header=BB6_57 Depth=2
	v_dual_mov_b32 v17, v15 :: v_dual_mov_b32 v16, v14
	v_dual_mov_b32 v19, v13 :: v_dual_mov_b32 v18, v12
	s_mov_b32 s14, 0
.LBB6_134:                              ;   Parent Loop BB6_47 Depth=1
                                        ;     Parent Loop BB6_57 Depth=2
                                        ; =>    This Inner Loop Header: Depth=3
	s_delay_alu instid0(VALU_DEP_1) | instskip(SKIP_1) | instid1(VALU_DEP_2)
	v_add_co_u32 v128, vcc_lo, v176, v18
	s_wait_alu 0xfffd
	v_add_co_ci_u32_e64 v129, null, v180, v19, vcc_lo
	v_add_co_u32 v40, vcc_lo, v176, v16
	v_sub_nc_u32_e32 v22, v22, v135
	s_clause 0x7
	global_load_b128 v[23:26], v[128:129], off th:TH_LOAD_NT
	global_load_b128 v[32:35], v[128:129], off offset:512 th:TH_LOAD_NT
	global_load_b128 v[36:39], v[128:129], off offset:1024 th:TH_LOAD_NT
	global_load_b128 v[48:51], v[128:129], off offset:1536 th:TH_LOAD_NT
	global_load_b128 v[100:103], v[128:129], off offset:2048 th:TH_LOAD_NT
	global_load_b128 v[112:115], v[128:129], off offset:2560 th:TH_LOAD_NT
	global_load_b128 v[116:119], v[128:129], off offset:3072 th:TH_LOAD_NT
	global_load_b128 v[128:131], v[128:129], off offset:3584 th:TH_LOAD_NT
	s_wait_alu 0xfffd
	v_add_co_ci_u32_e64 v41, null, v180, v17, vcc_lo
	v_add_co_u32 v18, vcc_lo, v18, v148
	s_wait_alu 0xfffd
	v_add_co_ci_u32_e64 v19, null, 0, v19, vcc_lo
	v_add_co_u32 v16, vcc_lo, v16, v148
	s_wait_alu 0xfffd
	v_add_co_ci_u32_e64 v17, null, 0, v17, vcc_lo
	v_cmp_gt_i32_e32 vcc_lo, 1, v22
	s_wait_loadcnt 0x7
	global_store_b128 v[40:41], v[23:26], off th:TH_STORE_NT
	s_wait_loadcnt 0x6
	global_store_b128 v[40:41], v[32:35], off offset:512 th:TH_STORE_NT
	s_wait_loadcnt 0x5
	global_store_b128 v[40:41], v[36:39], off offset:1024 th:TH_STORE_NT
	;; [unrolled: 2-line block ×7, first 2 shown]
	s_wait_alu 0xfffe
	s_or_b32 s14, vcc_lo, s14
	s_wait_alu 0xfffe
	s_and_not1_b32 exec_lo, exec_lo, s14
	s_cbranch_execnz .LBB6_134
; %bb.135:                              ;   in Loop: Header=BB6_57 Depth=2
	s_or_b32 exec_lo, exec_lo, s14
.LBB6_136:                              ;   in Loop: Header=BB6_57 Depth=2
	s_wait_alu 0xfffe
	s_or_b32 exec_lo, exec_lo, s13
	v_dual_mov_b32 v9, 0 :: v_dual_lshlrev_b32 v18, 12, v9
	s_mov_b32 s13, 0
	s_mov_b32 s19, exec_lo
                                        ; implicit-def: $vgpr16
                                        ; implicit-def: $vgpr17
                                        ; implicit-def: $vgpr25
	s_delay_alu instid0(VALU_DEP_1)
	v_cmpx_ne_u32_e64 v3, v18
	s_cbranch_execz .LBB6_144
; %bb.137:                              ;   in Loop: Header=BB6_57 Depth=2
	v_lshlrev_b32_e32 v9, 5, v22
	v_sub_nc_u32_e32 v17, v3, v18
	s_mov_b32 s20, exec_lo
	s_delay_alu instid0(VALU_DEP_2) | instskip(NEXT) | instid1(VALU_DEP_2)
	v_sub_nc_u32_e32 v9, v165, v9
	v_ashrrev_i32_e32 v19, 31, v17
	s_delay_alu instid0(VALU_DEP_2) | instskip(NEXT) | instid1(VALU_DEP_2)
	v_ashrrev_i32_e32 v16, 31, v9
	v_lshrrev_b32_e32 v19, 23, v19
	s_delay_alu instid0(VALU_DEP_2) | instskip(NEXT) | instid1(VALU_DEP_2)
	v_lshrrev_b32_e32 v16, 27, v16
	v_add_nc_u32_e32 v24, v17, v19
	s_delay_alu instid0(VALU_DEP_2) | instskip(NEXT) | instid1(VALU_DEP_2)
	v_add_nc_u32_e32 v16, v9, v16
	v_and_b32_e32 v19, 0xfffffe00, v24
	v_ashrrev_i32_e32 v24, 9, v24
	s_delay_alu instid0(VALU_DEP_3) | instskip(NEXT) | instid1(VALU_DEP_3)
	v_and_b32_e32 v22, 0xffffffe0, v16
	v_sub_nc_u32_e32 v23, v17, v19
	v_ashrrev_i32_e32 v25, 5, v16
	s_delay_alu instid0(VALU_DEP_3) | instskip(NEXT) | instid1(VALU_DEP_3)
	v_sub_nc_u32_e32 v22, v9, v22
	v_cmp_lt_i32_e32 vcc_lo, 15, v23
	s_delay_alu instid0(VALU_DEP_2) | instskip(SKIP_2) | instid1(VALU_DEP_2)
	v_lshlrev_b32_e32 v9, 4, v22
	s_wait_alu 0xfffd
	v_add_co_ci_u32_e64 v24, null, 0, v24, vcc_lo
	v_lshl_add_u32 v16, v25, 9, v9
	s_delay_alu instid0(VALU_DEP_2) | instskip(NEXT) | instid1(VALU_DEP_2)
	v_sub_nc_u32_e32 v24, v24, v25
	v_sub_nc_u32_e32 v9, v17, v16
	s_delay_alu instid0(VALU_DEP_1)
	v_cmpx_lt_i32_e32 15, v9
	s_cbranch_execz .LBB6_141
; %bb.138:                              ;   in Loop: Header=BB6_57 Depth=2
	v_add_nc_u32_e32 v16, v16, v18
	s_mov_b32 s21, 0
	s_delay_alu instid0(VALU_DEP_1)
	v_ashrrev_i32_e32 v17, 31, v16
.LBB6_139:                              ;   Parent Loop BB6_47 Depth=1
                                        ;     Parent Loop BB6_57 Depth=2
                                        ; =>    This Inner Loop Header: Depth=3
	v_add_co_u32 v25, s13, v12, v16
	s_wait_alu 0xf1fe
	s_delay_alu instid0(VALU_DEP_2)
	v_add_co_ci_u32_e64 v26, null, v13, v17, s13
	v_sub_nc_u32_e32 v9, v9, v149
	v_sub_nc_u32_e32 v24, v24, v135
	global_load_b128 v[32:35], v[25:26], off th:TH_LOAD_NT
	v_add_co_u32 v25, s13, v14, v16
	s_wait_alu 0xf1ff
	v_add_co_ci_u32_e64 v26, null, v15, v17, s13
	v_cmp_gt_i32_e64 s13, 16, v9
	v_add_co_u32 v16, s14, v16, v149
	s_wait_alu 0xf1ff
	v_add_co_ci_u32_e64 v17, null, 0, v17, s14
	s_or_b32 s21, s13, s21
	s_wait_loadcnt 0x0
	global_store_b128 v[25:26], v[32:35], off th:TH_STORE_NT
	s_wait_alu 0xfffe
	s_and_not1_b32 exec_lo, exec_lo, s21
	s_cbranch_execnz .LBB6_139
; %bb.140:                              ;   in Loop: Header=BB6_57 Depth=2
	s_or_b32 exec_lo, exec_lo, s21
.LBB6_141:                              ;   in Loop: Header=BB6_57 Depth=2
	s_wait_alu 0xfffe
	s_or_b32 exec_lo, exec_lo, s20
	v_dual_mov_b32 v9, 0 :: v_dual_and_b32 v26, 15, v3
	s_mov_b32 s14, 0
	s_mov_b32 s20, exec_lo
                                        ; implicit-def: $vgpr17
                                        ; implicit-def: $vgpr25
	s_delay_alu instid0(VALU_DEP_1) | instskip(NEXT) | instid1(VALU_DEP_1)
	v_cndmask_b32_e32 v16, v23, v26, vcc_lo
	v_cmpx_ne_u32_e32 0, v16
	s_cbranch_execz .LBB6_143
; %bb.142:                              ;   in Loop: Header=BB6_57 Depth=2
	v_cmp_lt_i32_e64 s13, 0, v24
	s_mov_b32 s14, exec_lo
	s_wait_alu 0xf1ff
	v_cndmask_b32_e64 v9, 0, v135, s13
	s_delay_alu instid0(VALU_DEP_1) | instskip(NEXT) | instid1(VALU_DEP_1)
	v_sub_nc_u32_e32 v9, v9, v24
	v_lshl_add_u32 v17, v9, 5, v22
	v_sub_nc_u32_e32 v22, v23, v26
	s_delay_alu instid0(VALU_DEP_2) | instskip(NEXT) | instid1(VALU_DEP_1)
	v_ashrrev_i32_e32 v9, 31, v17
	v_lshrrev_b32_e32 v9, 27, v9
	s_delay_alu instid0(VALU_DEP_1) | instskip(NEXT) | instid1(VALU_DEP_1)
	v_dual_cndmask_b32 v22, 0, v22 :: v_dual_add_nc_u32 v23, v17, v9
	v_add3_u32 v9, v19, v18, v22
	s_delay_alu instid0(VALU_DEP_2)
	v_ashrrev_i32_e32 v25, 5, v23
.LBB6_143:                              ;   in Loop: Header=BB6_57 Depth=2
	s_wait_alu 0xfffe
	s_or_b32 exec_lo, exec_lo, s20
	s_delay_alu instid0(SALU_CYCLE_1)
	s_and_b32 s13, s14, exec_lo
.LBB6_144:                              ;   in Loop: Header=BB6_57 Depth=2
	s_wait_alu 0xfffe
	s_or_b32 exec_lo, exec_lo, s19
	s_and_saveexec_b32 s14, s13
	s_cbranch_execz .LBB6_153
.LBB6_145:                              ;   in Loop: Header=BB6_57 Depth=2
	v_ashrrev_i32_e32 v18, 31, v16
	v_ashrrev_i32_e32 v19, 31, v17
	s_mov_b32 s13, exec_lo
	s_delay_alu instid0(VALU_DEP_2) | instskip(NEXT) | instid1(VALU_DEP_2)
	v_lshrrev_b32_e32 v18, 22, v18
	v_lshrrev_b32_e32 v19, 27, v19
	s_delay_alu instid0(VALU_DEP_2) | instskip(NEXT) | instid1(VALU_DEP_1)
	v_add_nc_u32_e32 v18, v16, v18
	v_ashrrev_i32_e32 v22, 10, v18
	s_delay_alu instid0(VALU_DEP_1) | instskip(NEXT) | instid1(VALU_DEP_1)
	v_sub_nc_u32_e32 v18, v22, v25
	v_cmpx_lt_i32_e32 0, v18
	s_cbranch_execz .LBB6_149
; %bb.146:                              ;   in Loop: Header=BB6_57 Depth=2
	v_add_nc_u32_e32 v23, v17, v19
	v_lshlrev_b32_e32 v24, 10, v25
	s_mov_b32 s19, 0
	s_delay_alu instid0(VALU_DEP_2) | instskip(NEXT) | instid1(VALU_DEP_1)
	v_and_b32_e32 v23, 0xffffffe0, v23
	v_sub_nc_u32_e32 v23, v17, v23
	s_delay_alu instid0(VALU_DEP_1) | instskip(NEXT) | instid1(VALU_DEP_1)
	v_add3_u32 v23, v9, v23, v24
	v_ashrrev_i32_e32 v24, 31, v23
.LBB6_147:                              ;   Parent Loop BB6_47 Depth=1
                                        ;     Parent Loop BB6_57 Depth=2
                                        ; =>    This Inner Loop Header: Depth=3
	v_add_co_u32 v25, vcc_lo, v23, v12
	s_wait_alu 0xfffd
	s_delay_alu instid0(VALU_DEP_2)
	v_add_co_ci_u32_e64 v26, null, v24, v13, vcc_lo
	v_sub_nc_u32_e32 v18, v18, v135
	s_clause 0x1f
	flat_load_u8 v27, v[25:26] th:TH_LOAD_NT
	flat_load_u8 v32, v[25:26] offset:32 th:TH_LOAD_NT
	flat_load_u8 v33, v[25:26] offset:64 th:TH_LOAD_NT
	;; [unrolled: 1-line block ×31, first 2 shown]
	v_add_co_u32 v25, vcc_lo, v23, v14
	s_wait_alu 0xfffd
	v_add_co_ci_u32_e64 v26, null, v24, v15, vcc_lo
	v_add_co_u32 v12, vcc_lo, v12, v150
	s_wait_alu 0xfffd
	v_add_co_ci_u32_e64 v13, null, 0, v13, vcc_lo
	;; [unrolled: 3-line block ×3, first 2 shown]
	v_cmp_gt_i32_e32 vcc_lo, 1, v18
	s_wait_loadcnt_dscnt 0x1f1f
	flat_store_b8 v[25:26], v27 th:TH_STORE_NT
	s_wait_loadcnt_dscnt 0x1e1f
	flat_store_b8 v[25:26], v32 offset:32 th:TH_STORE_NT
	s_wait_loadcnt_dscnt 0x1d1f
	flat_store_b8 v[25:26], v33 offset:64 th:TH_STORE_NT
	;; [unrolled: 2-line block ×31, first 2 shown]
	s_wait_alu 0xfffe
	s_or_b32 s19, vcc_lo, s19
	s_wait_alu 0xfffe
	s_and_not1_b32 exec_lo, exec_lo, s19
	s_cbranch_execnz .LBB6_147
; %bb.148:                              ;   in Loop: Header=BB6_57 Depth=2
	s_or_b32 exec_lo, exec_lo, s19
.LBB6_149:                              ;   in Loop: Header=BB6_57 Depth=2
	s_wait_alu 0xfffe
	s_or_b32 exec_lo, exec_lo, s13
	v_lshlrev_b32_e32 v12, 10, v22
	s_delay_alu instid0(VALU_DEP_1)
	v_cmp_ne_u32_e32 vcc_lo, v16, v12
	s_and_b32 exec_lo, exec_lo, vcc_lo
	s_cbranch_execz .LBB6_153
; %bb.150:                              ;   in Loop: Header=BB6_57 Depth=2
	v_add_nc_u32_e32 v13, v17, v19
	v_lshlrev_b32_e32 v14, 5, v18
	s_delay_alu instid0(VALU_DEP_2) | instskip(NEXT) | instid1(VALU_DEP_1)
	v_and_b32_e32 v13, 0xffffffe0, v13
	v_sub_nc_u32_e32 v13, v17, v13
	s_delay_alu instid0(VALU_DEP_1) | instskip(NEXT) | instid1(VALU_DEP_1)
	v_sub_nc_u32_e32 v13, v13, v14
	v_add_nc_u32_e32 v15, v12, v13
	s_delay_alu instid0(VALU_DEP_1) | instskip(NEXT) | instid1(VALU_DEP_1)
	v_sub_nc_u32_e32 v14, v16, v15
	v_cmp_lt_i32_e32 vcc_lo, 0, v14
	s_and_b32 exec_lo, exec_lo, vcc_lo
	s_cbranch_execz .LBB6_153
; %bb.151:                              ;   in Loop: Header=BB6_57 Depth=2
	s_trap 2
	ds_load_b64 v[12:13], v0
	v_add_nc_u32_e32 v9, v15, v9
	s_mov_b32 s19, 0
	s_delay_alu instid0(VALU_DEP_1)
	v_ashrrev_i32_e32 v15, 31, v9
.LBB6_152:                              ;   Parent Loop BB6_47 Depth=1
                                        ;     Parent Loop BB6_57 Depth=2
                                        ; =>    This Inner Loop Header: Depth=3
	s_wait_dscnt 0x0
	v_add_co_u32 v16, vcc_lo, v12, v9
	s_wait_alu 0xfffd
	s_delay_alu instid0(VALU_DEP_2)
	v_add_co_ci_u32_e64 v17, null, v13, v15, vcc_lo
	v_sub_nc_u32_e32 v14, v14, v144
	v_add_co_u32 v9, s13, v9, v144
	flat_load_u8 v18, v[16:17] th:TH_LOAD_NT
	s_wait_alu 0xf1ff
	v_add_co_ci_u32_e64 v15, null, 0, v15, s13
	v_cmp_gt_i32_e32 vcc_lo, 1, v14
	s_wait_alu 0xfffe
	s_or_b32 s19, vcc_lo, s19
	s_wait_loadcnt_dscnt 0x0
	flat_store_b8 v[16:17], v18 th:TH_STORE_NT
	s_wait_alu 0xfffe
	s_and_not1_b32 exec_lo, exec_lo, s19
	s_cbranch_execnz .LBB6_152
.LBB6_153:                              ;   in Loop: Header=BB6_57 Depth=2
	s_wait_alu 0xfffe
	s_or_b32 exec_lo, exec_lo, s14
	v_cmp_lt_i32_e64 s13, 0, v3
	s_and_saveexec_b32 s14, s2
	s_cbranch_execz .LBB6_128
.LBB6_154:                              ;   in Loop: Header=BB6_57 Depth=2
	s_and_saveexec_b32 s19, s3
	s_wait_alu 0xfffe
	s_xor_b32 s19, exec_lo, s19
	s_cbranch_execz .LBB6_169
; %bb.155:                              ;   in Loop: Header=BB6_57 Depth=2
	s_and_saveexec_b32 s20, s6
	s_cbranch_execz .LBB6_168
; %bb.156:                              ;   in Loop: Header=BB6_57 Depth=2
	s_mov_b32 s22, exec_lo
	s_mov_b32 s21, exec_lo
	s_wait_alu 0xfffe
	v_mbcnt_lo_u32_b32 v3, s22, 0
	s_wait_storecnt 0x0
	s_wait_loadcnt_dscnt 0x0
	global_inv scope:SCOPE_DEV
	v_cmpx_eq_u32_e32 0, v3
	s_cbranch_execz .LBB6_158
; %bb.157:                              ;   in Loop: Header=BB6_57 Depth=2
	s_bcnt1_i32_b32 s22, s22
	s_wait_alu 0xfffe
	v_dual_mov_b32 v13, v2 :: v_dual_mov_b32 v12, s22
	s_wait_loadcnt 0x0
	ds_add_u64 v0, v[12:13]
	s_trap 2
.LBB6_158:                              ;   in Loop: Header=BB6_57 Depth=2
	s_or_b32 exec_lo, exec_lo, s21
	s_trap 2
	ds_load_b64 v[12:13], v0
	s_wait_dscnt 0x0
	global_inv scope:SCOPE_SE
	v_add_co_u32 v70, vcc_lo, v70, v135
	s_wait_alu 0xfffd
	v_add_co_ci_u32_e64 v71, null, 0, v71, vcc_lo
	s_mov_b32 s21, exec_lo
	v_cmpx_lt_u64_e64 v[12:13], v[70:71]
	s_cbranch_execz .LBB6_167
; %bb.159:                              ;   in Loop: Header=BB6_57 Depth=2
	s_mov_b32 s22, 0
	s_mov_b32 s25, 0
                                        ; implicit-def: $sgpr23
                                        ; implicit-def: $sgpr24
	s_branch .LBB6_161
.LBB6_160:                              ;   in Loop: Header=BB6_161 Depth=3
	s_wait_alu 0xfffe
	s_or_b32 exec_lo, exec_lo, s27
	s_delay_alu instid0(SALU_CYCLE_1)
	s_and_b32 s26, exec_lo, s28
	s_wait_alu 0xfffe
	s_or_b32 s22, s26, s22
	s_and_not1_b32 s23, s23, exec_lo
	s_and_b32 s26, s24, exec_lo
	s_wait_alu 0xfffe
	s_or_b32 s23, s23, s26
	s_and_not1_b32 exec_lo, exec_lo, s22
	s_cbranch_execz .LBB6_165
.LBB6_161:                              ;   Parent Loop BB6_47 Depth=1
                                        ;     Parent Loop BB6_57 Depth=2
                                        ; =>    This Inner Loop Header: Depth=3
	s_wait_alu 0xfffe
	s_add_co_i32 s25, s25, 1
	s_wait_alu 0xfffe
	s_cmp_lg_u32 s25, 0x2710
	s_cselect_b32 s26, -1, 0
	s_wait_alu 0xfffe
	s_and_b32 vcc_lo, exec_lo, s26
	s_wait_alu 0xfffe
	s_cbranch_vccz .LBB6_163
; %bb.162:                              ;   in Loop: Header=BB6_161 Depth=3
	s_mov_b32 s28, -1
	s_or_b32 s24, s24, exec_lo
	s_and_saveexec_b32 s27, s26
	s_cbranch_execz .LBB6_160
	s_branch .LBB6_164
.LBB6_163:                              ;   in Loop: Header=BB6_161 Depth=3
	s_trap 2
	ds_load_b64 v[12:13], v0
	s_and_not1_b32 s26, s26, exec_lo
	s_mov_b32 s25, 0
	s_wait_loadcnt_dscnt 0x0
	flat_load_b32 v3, v[12:13] scope:SCOPE_SYS
	s_wait_loadcnt_dscnt 0x0
	global_inv scope:SCOPE_SYS
	v_cmp_eq_u32_e32 vcc_lo, 0, v3
	s_and_b32 s27, vcc_lo, exec_lo
	s_wait_alu 0xfffe
	s_or_b32 s26, s26, s27
	s_mov_b32 s28, -1
	s_or_b32 s24, s24, exec_lo
	s_wait_alu 0xfffe
	s_and_saveexec_b32 s27, s26
	s_cbranch_execz .LBB6_160
.LBB6_164:                              ;   in Loop: Header=BB6_161 Depth=3
	s_sleep 1
	s_trap 2
	ds_load_b64 v[12:13], v0
	s_wait_dscnt 0x0
	global_inv scope:SCOPE_SE
	s_wait_alu 0xfffe
	s_and_not1_b32 s24, s24, exec_lo
	v_cmp_ge_u64_e32 vcc_lo, v[12:13], v[70:71]
	s_or_not1_b32 s28, vcc_lo, exec_lo
	s_branch .LBB6_160
.LBB6_165:                              ;   in Loop: Header=BB6_57 Depth=2
	s_or_b32 exec_lo, exec_lo, s22
	s_wait_alu 0xfffe
	s_and_saveexec_b32 s22, s23
	s_wait_alu 0xfffe
	s_xor_b32 s22, exec_lo, s22
	s_cbranch_execz .LBB6_167
; %bb.166:                              ;   in Loop: Header=BB6_57 Depth=2
	ds_store_b32 v0, v145
	s_trap 2
.LBB6_167:                              ;   in Loop: Header=BB6_57 Depth=2
	s_wait_alu 0xfffe
	s_or_b32 exec_lo, exec_lo, s21
	;;#ASMSTART
	s_wakeup
	;;#ASMEND
.LBB6_168:                              ;   in Loop: Header=BB6_57 Depth=2
	s_wait_alu 0xfffe
	s_or_b32 exec_lo, exec_lo, s20
.LBB6_169:                              ;   in Loop: Header=BB6_57 Depth=2
	s_wait_alu 0xfffe
	s_and_not1_saveexec_b32 s19, s19
	s_cbranch_execz .LBB6_171
; %bb.170:                              ;   in Loop: Header=BB6_57 Depth=2
	s_wait_storecnt 0x0
	s_wait_loadcnt_dscnt 0x0
	global_inv scope:SCOPE_DEV
	s_barrier_signal -1
	s_barrier_wait -1
.LBB6_171:                              ;   in Loop: Header=BB6_57 Depth=2
	s_wait_alu 0xfffe
	s_or_b32 exec_lo, exec_lo, s19
	s_delay_alu instid0(SALU_CYCLE_1)
	s_or_b32 exec_lo, exec_lo, s14
                                        ; implicit-def: $vgpr3
	s_and_saveexec_b32 s14, s10
	s_wait_alu 0xfffe
	s_xor_b32 s14, exec_lo, s14
	s_cbranch_execnz .LBB6_129
.LBB6_172:                              ;   in Loop: Header=BB6_57 Depth=2
	s_wait_alu 0xfffe
	s_and_not1_saveexec_b32 s13, s14
	s_cbranch_execz .LBB6_191
.LBB6_173:                              ;   in Loop: Header=BB6_57 Depth=2
	s_and_saveexec_b32 s14, s3
	s_wait_alu 0xfffe
	s_xor_b32 s14, exec_lo, s14
	s_cbranch_execz .LBB6_188
; %bb.174:                              ;   in Loop: Header=BB6_57 Depth=2
	s_and_saveexec_b32 s19, s6
	s_cbranch_execz .LBB6_187
; %bb.175:                              ;   in Loop: Header=BB6_57 Depth=2
	s_mov_b32 s21, exec_lo
	s_mov_b32 s20, exec_lo
	s_wait_alu 0xfffe
	v_mbcnt_lo_u32_b32 v3, s21, 0
	;;#ASMSTART
	s_waitcnt lgkmcnt(0) vmcnt(0)
	;;#ASMEND
	s_delay_alu instid0(VALU_DEP_1)
	v_cmpx_eq_u32_e32 0, v3
	s_cbranch_execz .LBB6_177
; %bb.176:                              ;   in Loop: Header=BB6_57 Depth=2
	s_bcnt1_i32_b32 s21, s21
	s_wait_alu 0xfffe
	v_dual_mov_b32 v13, v2 :: v_dual_mov_b32 v12, s21
	s_wait_storecnt 0x0
	s_wait_loadcnt_dscnt 0x0
	ds_add_u64 v0, v[12:13]
	s_trap 2
.LBB6_177:                              ;   in Loop: Header=BB6_57 Depth=2
	s_or_b32 exec_lo, exec_lo, s20
	s_trap 2
	ds_load_b64 v[12:13], v0
	s_wait_dscnt 0x0
	global_inv scope:SCOPE_SE
	v_add_co_u32 v70, vcc_lo, v70, v135
	s_wait_alu 0xfffd
	v_add_co_ci_u32_e64 v71, null, 0, v71, vcc_lo
	s_mov_b32 s20, exec_lo
	v_cmpx_lt_u64_e64 v[12:13], v[70:71]
	s_cbranch_execz .LBB6_186
; %bb.178:                              ;   in Loop: Header=BB6_57 Depth=2
	s_mov_b32 s21, 0
	s_mov_b32 s24, 0
                                        ; implicit-def: $sgpr22
                                        ; implicit-def: $sgpr23
	s_branch .LBB6_180
.LBB6_179:                              ;   in Loop: Header=BB6_180 Depth=3
	s_wait_alu 0xfffe
	s_or_b32 exec_lo, exec_lo, s26
	s_delay_alu instid0(SALU_CYCLE_1)
	s_and_b32 s25, exec_lo, s27
	s_wait_alu 0xfffe
	s_or_b32 s21, s25, s21
	s_and_not1_b32 s22, s22, exec_lo
	s_and_b32 s25, s23, exec_lo
	s_wait_alu 0xfffe
	s_or_b32 s22, s22, s25
	s_and_not1_b32 exec_lo, exec_lo, s21
	s_cbranch_execz .LBB6_184
.LBB6_180:                              ;   Parent Loop BB6_47 Depth=1
                                        ;     Parent Loop BB6_57 Depth=2
                                        ; =>    This Inner Loop Header: Depth=3
	s_wait_alu 0xfffe
	s_add_co_i32 s24, s24, 1
	s_wait_alu 0xfffe
	s_cmp_lg_u32 s24, 0x2710
	s_cselect_b32 s25, -1, 0
	s_wait_alu 0xfffe
	s_and_b32 vcc_lo, exec_lo, s25
	s_wait_alu 0xfffe
	s_cbranch_vccz .LBB6_182
; %bb.181:                              ;   in Loop: Header=BB6_180 Depth=3
	s_mov_b32 s27, -1
	s_or_b32 s23, s23, exec_lo
	s_and_saveexec_b32 s26, s25
	s_cbranch_execz .LBB6_179
	s_branch .LBB6_183
.LBB6_182:                              ;   in Loop: Header=BB6_180 Depth=3
	s_trap 2
	ds_load_b64 v[12:13], v0
	s_and_not1_b32 s25, s25, exec_lo
	s_mov_b32 s24, 0
	s_wait_storecnt 0x0
	s_wait_loadcnt_dscnt 0x0
	flat_load_b32 v3, v[12:13] scope:SCOPE_SYS
	s_wait_loadcnt_dscnt 0x0
	global_inv scope:SCOPE_SYS
	v_cmp_eq_u32_e32 vcc_lo, 0, v3
	s_and_b32 s26, vcc_lo, exec_lo
	s_wait_alu 0xfffe
	s_or_b32 s25, s25, s26
	s_mov_b32 s27, -1
	s_or_b32 s23, s23, exec_lo
	s_wait_alu 0xfffe
	s_and_saveexec_b32 s26, s25
	s_cbranch_execz .LBB6_179
.LBB6_183:                              ;   in Loop: Header=BB6_180 Depth=3
	s_sleep 1
	s_trap 2
	ds_load_b64 v[12:13], v0
	s_wait_dscnt 0x0
	global_inv scope:SCOPE_SE
	s_wait_alu 0xfffe
	s_and_not1_b32 s23, s23, exec_lo
	v_cmp_ge_u64_e32 vcc_lo, v[12:13], v[70:71]
	s_or_not1_b32 s27, vcc_lo, exec_lo
	s_branch .LBB6_179
.LBB6_184:                              ;   in Loop: Header=BB6_57 Depth=2
	s_or_b32 exec_lo, exec_lo, s21
	s_wait_alu 0xfffe
	s_and_saveexec_b32 s21, s22
	s_wait_alu 0xfffe
	s_xor_b32 s21, exec_lo, s21
	s_cbranch_execz .LBB6_186
; %bb.185:                              ;   in Loop: Header=BB6_57 Depth=2
	ds_store_b32 v0, v145
	s_trap 2
.LBB6_186:                              ;   in Loop: Header=BB6_57 Depth=2
	s_wait_alu 0xfffe
	s_or_b32 exec_lo, exec_lo, s20
	;;#ASMSTART
	s_wakeup
	;;#ASMEND
.LBB6_187:                              ;   in Loop: Header=BB6_57 Depth=2
	s_wait_alu 0xfffe
	s_or_b32 exec_lo, exec_lo, s19
.LBB6_188:                              ;   in Loop: Header=BB6_57 Depth=2
	s_wait_alu 0xfffe
	s_and_not1_saveexec_b32 s14, s14
	s_cbranch_execz .LBB6_190
; %bb.189:                              ;   in Loop: Header=BB6_57 Depth=2
	;;#ASMSTART
	s_waitcnt lgkmcnt(0) vmcnt(0)
	;;#ASMEND
	s_barrier_signal -1
	s_barrier_wait -1
.LBB6_190:                              ;   in Loop: Header=BB6_57 Depth=2
	s_wait_alu 0xfffe
	s_or_b32 exec_lo, exec_lo, s14
	v_and_b32_e32 v3, 16, v30
.LBB6_191:                              ;   in Loop: Header=BB6_57 Depth=2
	s_wait_alu 0xfffe
	s_or_b32 exec_lo, exec_lo, s13
	s_delay_alu instid0(SALU_CYCLE_1) | instskip(NEXT) | instid1(VALU_DEP_1)
	s_mov_b32 s13, exec_lo
	v_cmpx_ne_u32_e32 0, v3
	s_cbranch_execz .LBB6_56
; %bb.192:                              ;   in Loop: Header=BB6_57 Depth=2
	s_and_saveexec_b32 s14, s5
	s_cbranch_execz .LBB6_55
; %bb.193:                              ;   in Loop: Header=BB6_57 Depth=2
	global_wb scope:SCOPE_SYS
	s_wait_storecnt 0x0
	s_wait_loadcnt_dscnt 0x0
	flat_store_b32 v[68:69], v145 scope:SCOPE_SYS
	s_branch .LBB6_55
.LBB6_194:                              ;   in Loop: Header=BB6_47 Depth=1
	s_or_b32 exec_lo, exec_lo, s16
.LBB6_195:                              ;   in Loop: Header=BB6_47 Depth=1
	s_wait_alu 0xfffe
	s_or_b32 exec_lo, exec_lo, s15
	s_delay_alu instid0(SALU_CYCLE_1)
	s_mov_b32 s14, exec_lo
	v_cmpx_gt_i32_e32 2, v3
	s_cbranch_execz .LBB6_267
; %bb.196:                              ;   in Loop: Header=BB6_47 Depth=1
	v_cmp_eq_u32_e64 s16, 0, v3
	s_mov_b32 s15, 0
	s_branch .LBB6_199
.LBB6_197:                              ;   in Loop: Header=BB6_199 Depth=2
	s_wait_alu 0xfffe
	s_or_b32 exec_lo, exec_lo, s16
	v_add_co_u32 v96, vcc_lo, v96, 2
	s_wait_alu 0xfffd
	v_add_co_ci_u32_e64 v97, null, 0, v97, vcc_lo
	global_wb scope:SCOPE_SYS
	s_wait_storecnt 0x0
	s_wait_loadcnt_dscnt 0x0
	flat_store_b64 v[64:65], v[96:97] scope:SCOPE_SYS
.LBB6_198:                              ;   in Loop: Header=BB6_199 Depth=2
	s_wait_alu 0xfffe
	s_or_b32 exec_lo, exec_lo, s13
	v_add_nc_u32_e32 v21, v8, v21
	s_mov_b32 s16, 0
	s_and_not1_b32 exec_lo, exec_lo, s15
	s_cbranch_execz .LBB6_266
.LBB6_199:                              ;   Parent Loop BB6_47 Depth=1
                                        ; =>  This Loop Header: Depth=2
                                        ;       Child Loop BB6_205 Depth 3
                                        ;       Child Loop BB6_229 Depth 3
	;; [unrolled: 1-line block ×3, first 2 shown]
	s_delay_alu instid0(VALU_DEP_1) | instskip(SKIP_2) | instid1(VALU_DEP_2)
	v_sub_nc_u32_e32 v3, v20, v21
	v_and_b32_e32 v9, 8, v30
	s_mov_b32 s17, exec_lo
	v_min_i32_e32 v8, v8, v3
	s_delay_alu instid0(VALU_DEP_2)
	v_cmpx_ne_u32_e32 0, v9
	s_cbranch_execz .LBB6_221
; %bb.200:                              ;   in Loop: Header=BB6_199 Depth=2
	v_add_co_u32 v12, vcc_lo, v80, 8
	s_wait_alu 0xfffd
	v_add_co_ci_u32_e64 v13, null, 0, v81, vcc_lo
	v_add_co_u32 v10, vcc_lo, v96, 2
	s_wait_alu 0xfffd
	v_add_co_ci_u32_e64 v11, null, 0, v97, vcc_lo
	s_mov_b32 s18, exec_lo
	v_cmpx_lt_u64_e64 v[12:13], v[10:11]
	s_cbranch_execz .LBB6_212
; %bb.201:                              ;   in Loop: Header=BB6_199 Depth=2
	v_and_b32_e32 v3, 64, v30
	s_mov_b32 s19, 0
	s_mov_b32 s23, 0
                                        ; implicit-def: $sgpr20
                                        ; implicit-def: $sgpr21
                                        ; implicit-def: $sgpr22
	s_delay_alu instid0(VALU_DEP_1)
	v_cmp_eq_u32_e32 vcc_lo, 0, v3
	s_branch .LBB6_205
.LBB6_202:                              ;   in Loop: Header=BB6_205 Depth=3
	v_add_co_u32 v12, s13, v80, 8
	s_wait_alu 0xf1ff
	v_add_co_ci_u32_e64 v13, null, 0, v81, s13
	s_or_b32 s26, s26, exec_lo
	v_cmp_ge_u64_e64 s13, v[12:13], v[10:11]
	s_or_not1_b32 s25, s13, exec_lo
.LBB6_203:                              ;   in Loop: Header=BB6_205 Depth=3
	s_wait_alu 0xfffe
	s_or_b32 exec_lo, exec_lo, s28
	s_delay_alu instid0(SALU_CYCLE_1)
	s_and_not1_b32 s13, s22, exec_lo
	s_and_b32 s22, s26, exec_lo
	s_and_not1_b32 s21, s21, exec_lo
	s_and_b32 s25, s25, exec_lo
	s_wait_alu 0xfffe
	s_or_b32 s22, s13, s22
	s_or_b32 s21, s21, s25
.LBB6_204:                              ;   in Loop: Header=BB6_205 Depth=3
	s_wait_alu 0xfffe
	s_or_b32 exec_lo, exec_lo, s24
	s_delay_alu instid0(SALU_CYCLE_1)
	s_and_b32 s13, exec_lo, s21
	s_wait_alu 0xfffe
	s_or_b32 s19, s13, s19
	s_and_not1_b32 s13, s20, exec_lo
	s_and_b32 s20, s22, exec_lo
	s_wait_alu 0xfffe
	s_or_b32 s20, s13, s20
	s_and_not1_b32 exec_lo, exec_lo, s19
	s_cbranch_execz .LBB6_209
.LBB6_205:                              ;   Parent Loop BB6_47 Depth=1
                                        ;     Parent Loop BB6_199 Depth=2
                                        ; =>    This Inner Loop Header: Depth=3
	s_sleep 1
	flat_load_b64 v[80:81], v[64:65] scope:SCOPE_SYS
	s_wait_loadcnt_dscnt 0x0
	global_inv scope:SCOPE_SYS
	s_or_b32 s22, s22, exec_lo
	s_or_b32 s21, s21, exec_lo
                                        ; implicit-def: $vgpr3
	s_and_saveexec_b32 s24, vcc_lo
	s_cbranch_execz .LBB6_204
; %bb.206:                              ;   in Loop: Header=BB6_205 Depth=3
	s_wait_alu 0xfffe
	s_cmp_lt_i32 s23, 0x270f
	s_mov_b32 s25, -1
	s_cselect_b32 s27, -1, 0
	s_cmp_gt_i32 s23, 0x270e
	s_cbranch_scc0 .LBB6_208
; %bb.207:                              ;   in Loop: Header=BB6_205 Depth=3
	s_trap 2
	ds_load_b64 v[12:13], v0
	s_wait_alu 0xfffe
	s_and_not1_b32 s23, s27, exec_lo
	s_mov_b32 s26, 0
	s_wait_storecnt 0x0
	s_wait_loadcnt_dscnt 0x0
	flat_load_b32 v3, v[12:13] scope:SCOPE_SYS
	s_wait_loadcnt_dscnt 0x0
	global_inv scope:SCOPE_SYS
	v_cmp_eq_u32_e64 s13, 0, v3
	s_and_b32 s13, s13, exec_lo
	s_wait_alu 0xfffe
	s_or_b32 s27, s23, s13
	s_mov_b32 s23, 0
	s_wait_alu 0xfffe
	s_and_saveexec_b32 s28, s27
	s_cbranch_execz .LBB6_203
	s_branch .LBB6_202
.LBB6_208:                              ;   in Loop: Header=BB6_205 Depth=3
	s_add_co_i32 s23, s23, 1
	s_mov_b32 s26, -1
                                        ; implicit-def: $vgpr3
	s_wait_alu 0xfffe
	s_and_saveexec_b32 s28, s27
	s_cbranch_execz .LBB6_203
	s_branch .LBB6_202
.LBB6_209:                              ;   in Loop: Header=BB6_199 Depth=2
	s_or_b32 exec_lo, exec_lo, s19
	s_wait_alu 0xfffe
	s_xor_b32 s13, s20, -1
	s_wait_alu 0xfffe
	s_and_saveexec_b32 s19, s13
	s_wait_alu 0xfffe
	s_xor_b32 s13, exec_lo, s19
	s_cbranch_execz .LBB6_211
; %bb.210:                              ;   in Loop: Header=BB6_199 Depth=2
	v_or_b32_e32 v30, 64, v30
	s_wait_loadcnt 0x0
	s_wait_storecnt 0x0
	ds_store_b32 v0, v3
	s_trap 2
.LBB6_211:                              ;   in Loop: Header=BB6_199 Depth=2
	s_wait_alu 0xfffe
	s_or_b32 exec_lo, exec_lo, s13
.LBB6_212:                              ;   in Loop: Header=BB6_199 Depth=2
	s_wait_alu 0xfffe
	s_or_b32 exec_lo, exec_lo, s18
	v_and_b32_e32 v3, 0x100, v30
	s_mov_b32 s13, -1
	;;#ASMSTART
	s_wakeup
	;;#ASMEND
                                        ; implicit-def: $vgpr12_vgpr13
	s_delay_alu instid0(VALU_DEP_1)
	v_cmp_ne_u32_e32 vcc_lo, 0, v3
	v_and_b32_e32 v3, 7, v96
	s_and_saveexec_b32 s18, vcc_lo
	s_cbranch_execz .LBB6_216
; %bb.213:                              ;   in Loop: Header=BB6_199 Depth=2
	s_delay_alu instid0(VALU_DEP_1)
	v_mad_co_u64_u32 v[14:15], null, v3, 24, v[6:7]
	v_ashrrev_i32_e32 v9, 31, v8
	flat_load_b32 v12, v[14:15]
	flat_store_b64 v[14:15], v[8:9] offset:8
	s_wait_loadcnt_dscnt 0x1
	v_cmp_eq_u32_e64 s13, 1, v12
	v_cmp_ne_u32_e32 vcc_lo, 1, v12
                                        ; implicit-def: $vgpr12_vgpr13
	s_wait_alu 0xfffe
	s_and_saveexec_b32 s19, s13
	s_cbranch_execz .LBB6_215
; %bb.214:                              ;   in Loop: Header=BB6_199 Depth=2
	flat_load_b32 v12, v[14:15] offset:4 scope:SCOPE_SYS
	s_wait_loadcnt_dscnt 0x0
	v_ashrrev_i32_e32 v13, 31, v12
.LBB6_215:                              ;   in Loop: Header=BB6_199 Depth=2
	s_wait_alu 0xfffe
	s_or_b32 exec_lo, exec_lo, s19
	s_delay_alu instid0(SALU_CYCLE_1)
	s_or_not1_b32 s13, vcc_lo, exec_lo
.LBB6_216:                              ;   in Loop: Header=BB6_199 Depth=2
	s_wait_alu 0xfffe
	s_or_b32 exec_lo, exec_lo, s18
	s_and_saveexec_b32 s18, s13
; %bb.217:                              ;   in Loop: Header=BB6_199 Depth=2
	v_mad_co_i64_i32 v[12:13], null, v3, v132, 0
; %bb.218:                              ;   in Loop: Header=BB6_199 Depth=2
	s_wait_alu 0xfffe
	s_or_b32 exec_lo, exec_lo, s18
	s_delay_alu instid0(VALU_DEP_1) | instskip(SKIP_2) | instid1(VALU_DEP_3)
	v_add_co_u32 v12, vcc_lo, v66, v12
	v_and_b32_e32 v3, 0x2000, v30
	s_wait_alu 0xfffd
	v_add_co_ci_u32_e64 v13, null, v67, v13, vcc_lo
	s_mov_b32 s13, exec_lo
	ds_store_b64 v0, v[12:13] offset:784
	v_cmpx_ne_u32_e32 0, v3
	s_cbranch_execz .LBB6_220
; %bb.219:                              ;   in Loop: Header=BB6_199 Depth=2
	ds_load_b64 v[12:13], v0 offset:872
	s_wait_dscnt 0x0
	v_add_co_u32 v12, vcc_lo, v12, 1
	s_wait_alu 0xfffd
	v_add_co_ci_u32_e64 v13, null, 0, v13, vcc_lo
	ds_store_b64 v0, v[12:13] offset:872
.LBB6_220:                              ;   in Loop: Header=BB6_199 Depth=2
	s_wait_alu 0xfffe
	s_or_b32 exec_lo, exec_lo, s13
	v_dual_mov_b32 v97, v11 :: v_dual_mov_b32 v96, v10
.LBB6_221:                              ;   in Loop: Header=BB6_199 Depth=2
	s_wait_alu 0xfffe
	s_or_b32 exec_lo, exec_lo, s17
	s_xor_b32 s13, s16, -1
	s_wait_alu 0xfffe
	s_and_b32 s13, exec_lo, s13
	s_wait_alu 0xfffe
	s_or_b32 s15, s13, s15
	s_and_saveexec_b32 s13, s2
	s_cbranch_execz .LBB6_240
; %bb.222:                              ;   in Loop: Header=BB6_199 Depth=2
	s_and_saveexec_b32 s16, s3
	s_wait_alu 0xfffe
	s_xor_b32 s16, exec_lo, s16
	s_cbranch_execz .LBB6_237
; %bb.223:                              ;   in Loop: Header=BB6_199 Depth=2
	s_and_saveexec_b32 s17, s6
	s_cbranch_execz .LBB6_236
; %bb.224:                              ;   in Loop: Header=BB6_199 Depth=2
	s_mov_b32 s19, exec_lo
	s_mov_b32 s18, exec_lo
	s_wait_alu 0xfffe
	v_mbcnt_lo_u32_b32 v3, s19, 0
	s_wait_storecnt 0x0
	s_wait_loadcnt_dscnt 0x0
	global_inv scope:SCOPE_DEV
	v_cmpx_eq_u32_e32 0, v3
	s_cbranch_execz .LBB6_226
; %bb.225:                              ;   in Loop: Header=BB6_199 Depth=2
	s_bcnt1_i32_b32 s19, s19
	s_wait_alu 0xfffe
	v_dual_mov_b32 v10, v2 :: v_dual_mov_b32 v9, s19
	s_wait_loadcnt 0x0
	ds_add_u64 v0, v[9:10]
	s_trap 2
.LBB6_226:                              ;   in Loop: Header=BB6_199 Depth=2
	s_or_b32 exec_lo, exec_lo, s18
	s_trap 2
	ds_load_b64 v[9:10], v0
	s_wait_dscnt 0x0
	global_inv scope:SCOPE_SE
	v_add_co_u32 v70, vcc_lo, v70, v135
	s_wait_alu 0xfffd
	v_add_co_ci_u32_e64 v71, null, 0, v71, vcc_lo
	s_mov_b32 s18, exec_lo
	v_cmpx_lt_u64_e64 v[9:10], v[70:71]
	s_cbranch_execz .LBB6_235
; %bb.227:                              ;   in Loop: Header=BB6_199 Depth=2
	s_mov_b32 s19, 0
	s_mov_b32 s22, 0
                                        ; implicit-def: $sgpr20
                                        ; implicit-def: $sgpr21
	s_branch .LBB6_229
.LBB6_228:                              ;   in Loop: Header=BB6_229 Depth=3
	s_wait_alu 0xfffe
	s_or_b32 exec_lo, exec_lo, s24
	s_delay_alu instid0(SALU_CYCLE_1)
	s_and_b32 s23, exec_lo, s25
	s_wait_alu 0xfffe
	s_or_b32 s19, s23, s19
	s_and_not1_b32 s20, s20, exec_lo
	s_and_b32 s23, s21, exec_lo
	s_wait_alu 0xfffe
	s_or_b32 s20, s20, s23
	s_and_not1_b32 exec_lo, exec_lo, s19
	s_cbranch_execz .LBB6_233
.LBB6_229:                              ;   Parent Loop BB6_47 Depth=1
                                        ;     Parent Loop BB6_199 Depth=2
                                        ; =>    This Inner Loop Header: Depth=3
	s_wait_alu 0xfffe
	s_add_co_i32 s22, s22, 1
	s_wait_alu 0xfffe
	s_cmp_lg_u32 s22, 0x2710
	s_cselect_b32 s23, -1, 0
	s_wait_alu 0xfffe
	s_and_b32 vcc_lo, exec_lo, s23
	s_wait_alu 0xfffe
	s_cbranch_vccz .LBB6_231
; %bb.230:                              ;   in Loop: Header=BB6_229 Depth=3
	s_mov_b32 s25, -1
	s_or_b32 s21, s21, exec_lo
	s_and_saveexec_b32 s24, s23
	s_cbranch_execz .LBB6_228
	s_branch .LBB6_232
.LBB6_231:                              ;   in Loop: Header=BB6_229 Depth=3
	s_trap 2
	ds_load_b64 v[9:10], v0
	s_and_not1_b32 s23, s23, exec_lo
	s_mov_b32 s22, 0
	s_wait_loadcnt_dscnt 0x0
	flat_load_b32 v3, v[9:10] scope:SCOPE_SYS
	s_wait_loadcnt_dscnt 0x0
	global_inv scope:SCOPE_SYS
	v_cmp_eq_u32_e32 vcc_lo, 0, v3
	s_and_b32 s24, vcc_lo, exec_lo
	s_wait_alu 0xfffe
	s_or_b32 s23, s23, s24
	s_mov_b32 s25, -1
	s_or_b32 s21, s21, exec_lo
	s_wait_alu 0xfffe
	s_and_saveexec_b32 s24, s23
	s_cbranch_execz .LBB6_228
.LBB6_232:                              ;   in Loop: Header=BB6_229 Depth=3
	s_sleep 1
	s_trap 2
	ds_load_b64 v[9:10], v0
	s_wait_dscnt 0x0
	global_inv scope:SCOPE_SE
	s_wait_alu 0xfffe
	s_and_not1_b32 s21, s21, exec_lo
	v_cmp_ge_u64_e32 vcc_lo, v[9:10], v[70:71]
	s_or_not1_b32 s25, vcc_lo, exec_lo
	s_branch .LBB6_228
.LBB6_233:                              ;   in Loop: Header=BB6_199 Depth=2
	s_or_b32 exec_lo, exec_lo, s19
	s_wait_alu 0xfffe
	s_and_saveexec_b32 s19, s20
	s_wait_alu 0xfffe
	s_xor_b32 s19, exec_lo, s19
	s_cbranch_execz .LBB6_235
; %bb.234:                              ;   in Loop: Header=BB6_199 Depth=2
	ds_store_b32 v0, v145
	s_trap 2
.LBB6_235:                              ;   in Loop: Header=BB6_199 Depth=2
	s_wait_alu 0xfffe
	s_or_b32 exec_lo, exec_lo, s18
	;;#ASMSTART
	s_wakeup
	;;#ASMEND
.LBB6_236:                              ;   in Loop: Header=BB6_199 Depth=2
	s_wait_alu 0xfffe
	s_or_b32 exec_lo, exec_lo, s17
.LBB6_237:                              ;   in Loop: Header=BB6_199 Depth=2
	s_wait_alu 0xfffe
	s_and_not1_saveexec_b32 s16, s16
	s_cbranch_execz .LBB6_239
; %bb.238:                              ;   in Loop: Header=BB6_199 Depth=2
	s_wait_storecnt 0x0
	s_wait_loadcnt_dscnt 0x0
	global_inv scope:SCOPE_DEV
	s_barrier_signal -1
	s_barrier_wait -1
.LBB6_239:                              ;   in Loop: Header=BB6_199 Depth=2
	s_wait_alu 0xfffe
	s_or_b32 exec_lo, exec_lo, s16
.LBB6_240:                              ;   in Loop: Header=BB6_199 Depth=2
	s_wait_alu 0xfffe
	s_or_b32 exec_lo, exec_lo, s13
                                        ; implicit-def: $vgpr3
	s_and_saveexec_b32 s13, s10
	s_wait_alu 0xfffe
	s_xor_b32 s16, exec_lo, s13
	s_cbranch_execz .LBB6_244
; %bb.241:                              ;   in Loop: Header=BB6_199 Depth=2
	s_trap 2
	ds_load_b32 v3, v0
	v_cmp_lt_i32_e32 vcc_lo, 0, v8
	s_wait_dscnt 0x0
	v_readfirstlane_b32 s13, v3
	v_and_b32_e32 v3, 16, v30
	s_cmp_eq_u32 s13, 0
	s_delay_alu instid0(VALU_DEP_1)
	v_cmp_ne_u32_e64 s13, 0, v3
	s_cselect_b32 s17, -1, 0
	v_and_b32_e32 v3, 16, v30
	s_wait_alu 0xfffe
	s_and_b32 s17, vcc_lo, s17
	s_wait_alu 0xfffe
	s_and_b32 s17, s13, s17
	s_wait_alu 0xfffe
	s_and_saveexec_b32 s13, s17
	s_cbranch_execz .LBB6_243
; %bb.242:                              ;   in Loop: Header=BB6_199 Depth=2
	v_mov_b32_e32 v3, 1
	global_wb scope:SCOPE_SYS
	s_wait_loadcnt 0x0
	s_wait_storecnt 0x0
	global_inv scope:SCOPE_SYS
.LBB6_243:                              ;   in Loop: Header=BB6_199 Depth=2
	s_wait_alu 0xfffe
	s_or_b32 exec_lo, exec_lo, s13
	s_and_not1_saveexec_b32 s13, s16
	s_cbranch_execz .LBB6_263
	s_branch .LBB6_245
.LBB6_244:                              ;   in Loop: Header=BB6_199 Depth=2
	s_wait_alu 0xfffe
	s_and_not1_saveexec_b32 s13, s16
	s_cbranch_execz .LBB6_263
.LBB6_245:                              ;   in Loop: Header=BB6_199 Depth=2
	s_and_saveexec_b32 s16, s3
	s_wait_alu 0xfffe
	s_xor_b32 s16, exec_lo, s16
	s_cbranch_execz .LBB6_260
; %bb.246:                              ;   in Loop: Header=BB6_199 Depth=2
	s_and_saveexec_b32 s17, s6
	s_cbranch_execz .LBB6_259
; %bb.247:                              ;   in Loop: Header=BB6_199 Depth=2
	s_mov_b32 s19, exec_lo
	s_mov_b32 s18, exec_lo
	s_wait_alu 0xfffe
	v_mbcnt_lo_u32_b32 v3, s19, 0
	;;#ASMSTART
	s_waitcnt lgkmcnt(0) vmcnt(0)
	;;#ASMEND
	s_delay_alu instid0(VALU_DEP_1)
	v_cmpx_eq_u32_e32 0, v3
	s_cbranch_execz .LBB6_249
; %bb.248:                              ;   in Loop: Header=BB6_199 Depth=2
	s_bcnt1_i32_b32 s19, s19
	s_wait_alu 0xfffe
	v_dual_mov_b32 v10, v2 :: v_dual_mov_b32 v9, s19
	s_wait_storecnt 0x0
	s_wait_loadcnt_dscnt 0x0
	ds_add_u64 v0, v[9:10]
	s_trap 2
.LBB6_249:                              ;   in Loop: Header=BB6_199 Depth=2
	s_or_b32 exec_lo, exec_lo, s18
	s_trap 2
	ds_load_b64 v[9:10], v0
	s_wait_dscnt 0x0
	global_inv scope:SCOPE_SE
	v_add_co_u32 v70, vcc_lo, v70, v135
	s_wait_alu 0xfffd
	v_add_co_ci_u32_e64 v71, null, 0, v71, vcc_lo
	s_mov_b32 s18, exec_lo
	v_cmpx_lt_u64_e64 v[9:10], v[70:71]
	s_cbranch_execz .LBB6_258
; %bb.250:                              ;   in Loop: Header=BB6_199 Depth=2
	s_mov_b32 s19, 0
	s_mov_b32 s22, 0
                                        ; implicit-def: $sgpr20
                                        ; implicit-def: $sgpr21
	s_branch .LBB6_252
.LBB6_251:                              ;   in Loop: Header=BB6_252 Depth=3
	s_wait_alu 0xfffe
	s_or_b32 exec_lo, exec_lo, s24
	s_delay_alu instid0(SALU_CYCLE_1)
	s_and_b32 s23, exec_lo, s25
	s_wait_alu 0xfffe
	s_or_b32 s19, s23, s19
	s_and_not1_b32 s20, s20, exec_lo
	s_and_b32 s23, s21, exec_lo
	s_wait_alu 0xfffe
	s_or_b32 s20, s20, s23
	s_and_not1_b32 exec_lo, exec_lo, s19
	s_cbranch_execz .LBB6_256
.LBB6_252:                              ;   Parent Loop BB6_47 Depth=1
                                        ;     Parent Loop BB6_199 Depth=2
                                        ; =>    This Inner Loop Header: Depth=3
	s_wait_alu 0xfffe
	s_add_co_i32 s22, s22, 1
	s_wait_alu 0xfffe
	s_cmp_lg_u32 s22, 0x2710
	s_cselect_b32 s23, -1, 0
	s_wait_alu 0xfffe
	s_and_b32 vcc_lo, exec_lo, s23
	s_wait_alu 0xfffe
	s_cbranch_vccz .LBB6_254
; %bb.253:                              ;   in Loop: Header=BB6_252 Depth=3
	s_mov_b32 s25, -1
	s_or_b32 s21, s21, exec_lo
	s_and_saveexec_b32 s24, s23
	s_cbranch_execz .LBB6_251
	s_branch .LBB6_255
.LBB6_254:                              ;   in Loop: Header=BB6_252 Depth=3
	s_trap 2
	ds_load_b64 v[9:10], v0
	s_and_not1_b32 s23, s23, exec_lo
	s_mov_b32 s22, 0
	s_wait_storecnt 0x0
	s_wait_loadcnt_dscnt 0x0
	flat_load_b32 v3, v[9:10] scope:SCOPE_SYS
	s_wait_loadcnt_dscnt 0x0
	global_inv scope:SCOPE_SYS
	v_cmp_eq_u32_e32 vcc_lo, 0, v3
	s_and_b32 s24, vcc_lo, exec_lo
	s_wait_alu 0xfffe
	s_or_b32 s23, s23, s24
	s_mov_b32 s25, -1
	s_or_b32 s21, s21, exec_lo
	s_wait_alu 0xfffe
	s_and_saveexec_b32 s24, s23
	s_cbranch_execz .LBB6_251
.LBB6_255:                              ;   in Loop: Header=BB6_252 Depth=3
	s_sleep 1
	s_trap 2
	ds_load_b64 v[9:10], v0
	s_wait_dscnt 0x0
	global_inv scope:SCOPE_SE
	s_wait_alu 0xfffe
	s_and_not1_b32 s21, s21, exec_lo
	v_cmp_ge_u64_e32 vcc_lo, v[9:10], v[70:71]
	s_or_not1_b32 s25, vcc_lo, exec_lo
	s_branch .LBB6_251
.LBB6_256:                              ;   in Loop: Header=BB6_199 Depth=2
	s_or_b32 exec_lo, exec_lo, s19
	s_wait_alu 0xfffe
	s_and_saveexec_b32 s19, s20
	s_wait_alu 0xfffe
	s_xor_b32 s19, exec_lo, s19
	s_cbranch_execz .LBB6_258
; %bb.257:                              ;   in Loop: Header=BB6_199 Depth=2
	ds_store_b32 v0, v145
	s_trap 2
.LBB6_258:                              ;   in Loop: Header=BB6_199 Depth=2
	s_wait_alu 0xfffe
	s_or_b32 exec_lo, exec_lo, s18
	;;#ASMSTART
	s_wakeup
	;;#ASMEND
.LBB6_259:                              ;   in Loop: Header=BB6_199 Depth=2
	s_wait_alu 0xfffe
	s_or_b32 exec_lo, exec_lo, s17
.LBB6_260:                              ;   in Loop: Header=BB6_199 Depth=2
	s_wait_alu 0xfffe
	s_and_not1_saveexec_b32 s16, s16
	s_cbranch_execz .LBB6_262
; %bb.261:                              ;   in Loop: Header=BB6_199 Depth=2
	;;#ASMSTART
	s_waitcnt lgkmcnt(0) vmcnt(0)
	;;#ASMEND
	s_barrier_signal -1
	s_barrier_wait -1
.LBB6_262:                              ;   in Loop: Header=BB6_199 Depth=2
	s_wait_alu 0xfffe
	s_or_b32 exec_lo, exec_lo, s16
	v_and_b32_e32 v3, 16, v30
.LBB6_263:                              ;   in Loop: Header=BB6_199 Depth=2
	s_wait_alu 0xfffe
	s_or_b32 exec_lo, exec_lo, s13
	s_delay_alu instid0(SALU_CYCLE_1) | instskip(NEXT) | instid1(VALU_DEP_1)
	s_mov_b32 s13, exec_lo
	v_cmpx_ne_u32_e32 0, v3
	s_cbranch_execz .LBB6_198
; %bb.264:                              ;   in Loop: Header=BB6_199 Depth=2
	s_and_saveexec_b32 s16, s5
	s_cbranch_execz .LBB6_197
; %bb.265:                              ;   in Loop: Header=BB6_199 Depth=2
	global_wb scope:SCOPE_SYS
	s_wait_storecnt 0x0
	s_wait_loadcnt_dscnt 0x0
	flat_store_b32 v[68:69], v145 scope:SCOPE_SYS
	s_branch .LBB6_197
.LBB6_266:                              ;   in Loop: Header=BB6_47 Depth=1
	s_or_b32 exec_lo, exec_lo, s15
.LBB6_267:                              ;   in Loop: Header=BB6_47 Depth=1
	s_wait_alu 0xfffe
	s_or_b32 exec_lo, exec_lo, s14
	s_delay_alu instid0(SALU_CYCLE_1)
	s_and_not1_b32 vcc_lo, exec_lo, s93
	s_wait_alu 0xfffe
	s_cbranch_vccnz .LBB6_492
; %bb.268:                              ;   in Loop: Header=BB6_47 Depth=1
	s_mov_b32 s77, 2
	s_branch .LBB6_271
.LBB6_269:                              ;   in Loop: Header=BB6_271 Depth=2
	s_or_b32 exec_lo, exec_lo, s15
.LBB6_270:                              ;   in Loop: Header=BB6_271 Depth=2
	s_wait_alu 0xfffe
	s_or_b32 exec_lo, exec_lo, s14
	s_add_co_i32 s77, s77, 1
	s_wait_alu 0xfffe
	s_cmp_eq_u32 s77, s72
	s_cbranch_scc1 .LBB6_492
.LBB6_271:                              ;   Parent Loop BB6_47 Depth=1
                                        ; =>  This Loop Header: Depth=2
                                        ;       Child Loop BB6_274 Depth 3
                                        ;         Child Loop BB6_282 Depth 4
                                        ;         Child Loop BB6_310 Depth 4
	;; [unrolled: 1-line block ×9, first 2 shown]
                                        ;       Child Loop BB6_420 Depth 3
                                        ;         Child Loop BB6_426 Depth 4
                                        ;         Child Loop BB6_454 Depth 4
	;; [unrolled: 1-line block ×3, first 2 shown]
	s_wait_alu 0xfffe
	s_sub_co_i32 s13, s88, s77
	v_mov_b32_e32 v131, 0
	s_wait_alu 0xfffe
	s_cmp_ge_i32 s13, s72
	s_mov_b32 s37, 0
	s_cselect_b32 s14, s72, 0
	s_wait_alu 0xfffe
	s_sub_co_i32 s13, s13, s14
	s_wait_alu 0xfffe
	s_ashr_i32 s14, s13, 31
	v_mul_lo_u32 v3, v87, s13
	v_mad_co_u64_u32 v[102:103], null, v86, s13, 0
	s_wait_alu 0xfffe
	v_mul_lo_u32 v8, v86, s14
	s_delay_alu instid0(VALU_DEP_1) | instskip(NEXT) | instid1(VALU_DEP_3)
	v_add3_u32 v103, v103, v8, v3
	v_sub_co_u32 v8, vcc_lo, v98, v102
	s_wait_alu 0xfffd
	s_delay_alu instid0(VALU_DEP_2) | instskip(NEXT) | instid1(VALU_DEP_1)
	v_sub_co_ci_u32_e64 v9, null, v99, v103, vcc_lo
	v_cmp_lt_i64_e32 vcc_lo, v[86:87], v[8:9]
	s_wait_alu 0xfffd
	v_cndmask_b32_e32 v8, v8, v86, vcc_lo
	s_delay_alu instid0(VALU_DEP_1) | instskip(NEXT) | instid1(VALU_DEP_1)
	v_max_i32_e32 v130, 0, v8
	v_add_nc_u32_e32 v3, 31, v130
	s_delay_alu instid0(VALU_DEP_1) | instskip(NEXT) | instid1(VALU_DEP_1)
	v_lshrrev_b32_e32 v3, 1, v3
	v_and_b32_e32 v9, 0x3ffffff0, v3
	v_cmp_lt_i32_e32 vcc_lo, 0, v8
	v_mov_b32_e32 v3, 0
	s_delay_alu instid0(VALU_DEP_3)
	v_max_i32_e32 v100, s92, v9
	s_and_b32 s13, vcc_hi, vcc_lo
	s_wait_alu 0xfffe
	s_and_saveexec_b32 s36, s13
	s_cbranch_execz .LBB6_417
; %bb.272:                              ;   in Loop: Header=BB6_271 Depth=2
	v_mov_b32_e32 v131, 0
	s_mov_b32 s39, 1
	s_mov_b32 s38, -1
	s_branch .LBB6_274
.LBB6_273:                              ;   in Loop: Header=BB6_274 Depth=3
	s_wait_alu 0xfffe
	s_or_b32 exec_lo, exec_lo, s13
	v_add_nc_u32_e32 v131, v100, v131
	s_xor_b32 s13, s38, -1
	v_mov_b32_e32 v3, s39
	s_mov_b32 s38, 0
	s_mov_b32 s39, 2
	v_cmp_ge_i32_e32 vcc_lo, v131, v130
	s_wait_alu 0xfffe
	s_or_b32 s13, s13, vcc_lo
	s_wait_alu 0xfffe
	s_and_b32 s13, exec_lo, s13
	s_wait_alu 0xfffe
	s_or_b32 s37, s13, s37
	s_wait_alu 0xfffe
	s_and_not1_b32 exec_lo, exec_lo, s37
	s_cbranch_execz .LBB6_416
.LBB6_274:                              ;   Parent Loop BB6_47 Depth=1
                                        ;     Parent Loop BB6_271 Depth=2
                                        ; =>    This Loop Header: Depth=3
                                        ;         Child Loop BB6_282 Depth 4
                                        ;         Child Loop BB6_310 Depth 4
	;; [unrolled: 1-line block ×9, first 2 shown]
	s_and_saveexec_b32 s13, s0
	s_cbranch_execz .LBB6_276
; %bb.275:                              ;   in Loop: Header=BB6_274 Depth=3
	s_trap 2
	ds_load_b64 v[8:9], v0
	s_wait_dscnt 0x0
	v_add_co_u32 v3, vcc_lo, v8, v182
	s_wait_alu 0xfffd
	v_add_co_ci_u32_e64 v8, null, v9, v183, vcc_lo
	v_ashrrev_i32_e32 v9, 31, v131
	s_delay_alu instid0(VALU_DEP_3) | instskip(SKIP_1) | instid1(VALU_DEP_3)
	v_add_co_u32 v3, vcc_lo, v3, v102
	s_wait_alu 0xfffd
	v_add_co_ci_u32_e64 v10, null, v8, v103, vcc_lo
	s_delay_alu instid0(VALU_DEP_2) | instskip(SKIP_1) | instid1(VALU_DEP_2)
	v_add_co_u32 v8, vcc_lo, v3, v131
	s_wait_alu 0xfffd
	v_add_co_ci_u32_e64 v9, null, v10, v9, vcc_lo
	v_mov_b32_e32 v3, v2
	ds_store_b64 v0, v[8:9]
	ds_store_b64 v0, v[2:3]
.LBB6_276:                              ;   in Loop: Header=BB6_274 Depth=3
	s_wait_alu 0xfffe
	s_or_b32 exec_lo, exec_lo, s13
	v_sub_nc_u32_e32 v3, v130, v131
	v_and_b32_e32 v8, 12, v30
	s_mov_b32 s14, exec_lo
	s_delay_alu instid0(VALU_DEP_2) | instskip(NEXT) | instid1(VALU_DEP_2)
	v_min_i32_e32 v100, v100, v3
	v_cmpx_ne_u32_e32 0, v8
	s_cbranch_execz .LBB6_302
; %bb.277:                              ;   in Loop: Header=BB6_274 Depth=3
	v_and_b32_e32 v3, 8, v30
	s_mov_b32 s15, exec_lo
	s_delay_alu instid0(VALU_DEP_1)
	v_add_co_u32 v10, vcc_lo, v80, v3
	s_wait_alu 0xfffd
	v_add_co_ci_u32_e64 v11, null, 0, v81, vcc_lo
	v_add_co_u32 v8, vcc_lo, v96, 2
	s_wait_alu 0xfffd
	v_add_co_ci_u32_e64 v9, null, 0, v97, vcc_lo
	s_delay_alu instid0(VALU_DEP_1)
	v_cmpx_lt_u64_e64 v[10:11], v[8:9]
	s_cbranch_execz .LBB6_289
; %bb.278:                              ;   in Loop: Header=BB6_274 Depth=3
	v_and_b32_e32 v10, 64, v30
	s_mov_b32 s16, 0
	s_mov_b32 s20, 0
                                        ; implicit-def: $sgpr17
                                        ; implicit-def: $sgpr18
                                        ; implicit-def: $sgpr19
	s_delay_alu instid0(VALU_DEP_1)
	v_cmp_eq_u32_e32 vcc_lo, 0, v10
	s_branch .LBB6_282
.LBB6_279:                              ;   in Loop: Header=BB6_282 Depth=4
	v_add_co_u32 v11, s13, v80, v3
	s_wait_alu 0xf1ff
	v_add_co_ci_u32_e64 v12, null, 0, v81, s13
	s_or_b32 s23, s23, exec_lo
	v_cmp_ge_u64_e64 s13, v[11:12], v[8:9]
	s_or_not1_b32 s22, s13, exec_lo
.LBB6_280:                              ;   in Loop: Header=BB6_282 Depth=4
	s_wait_alu 0xfffe
	s_or_b32 exec_lo, exec_lo, s25
	s_delay_alu instid0(SALU_CYCLE_1)
	s_and_not1_b32 s13, s19, exec_lo
	s_and_b32 s19, s23, exec_lo
	s_and_not1_b32 s18, s18, exec_lo
	s_and_b32 s22, s22, exec_lo
	s_wait_alu 0xfffe
	s_or_b32 s19, s13, s19
	s_or_b32 s18, s18, s22
.LBB6_281:                              ;   in Loop: Header=BB6_282 Depth=4
	s_wait_alu 0xfffe
	s_or_b32 exec_lo, exec_lo, s21
	s_delay_alu instid0(SALU_CYCLE_1)
	s_and_b32 s13, exec_lo, s18
	s_wait_alu 0xfffe
	s_or_b32 s16, s13, s16
	s_and_not1_b32 s13, s17, exec_lo
	s_and_b32 s17, s19, exec_lo
	s_wait_alu 0xfffe
	s_or_b32 s17, s13, s17
	s_and_not1_b32 exec_lo, exec_lo, s16
	s_cbranch_execz .LBB6_286
.LBB6_282:                              ;   Parent Loop BB6_47 Depth=1
                                        ;     Parent Loop BB6_271 Depth=2
                                        ;       Parent Loop BB6_274 Depth=3
                                        ; =>      This Inner Loop Header: Depth=4
	s_sleep 1
	flat_load_b64 v[80:81], v[64:65] scope:SCOPE_SYS
	s_wait_loadcnt_dscnt 0x0
	global_inv scope:SCOPE_SYS
	s_or_b32 s19, s19, exec_lo
	s_or_b32 s18, s18, exec_lo
                                        ; implicit-def: $vgpr10
	s_and_saveexec_b32 s21, vcc_lo
	s_cbranch_execz .LBB6_281
; %bb.283:                              ;   in Loop: Header=BB6_282 Depth=4
	s_wait_alu 0xfffe
	s_cmp_lt_i32 s20, 0x270f
	s_mov_b32 s22, -1
	s_cselect_b32 s24, -1, 0
	s_cmp_gt_i32 s20, 0x270e
	s_cbranch_scc0 .LBB6_285
; %bb.284:                              ;   in Loop: Header=BB6_282 Depth=4
	s_trap 2
	ds_load_b64 v[10:11], v0
	s_wait_alu 0xfffe
	s_and_not1_b32 s20, s24, exec_lo
	s_mov_b32 s23, 0
	s_wait_storecnt 0x0
	s_wait_loadcnt_dscnt 0x0
	flat_load_b32 v10, v[10:11] scope:SCOPE_SYS
	s_wait_loadcnt_dscnt 0x0
	global_inv scope:SCOPE_SYS
	v_cmp_eq_u32_e64 s13, 0, v10
	s_and_b32 s13, s13, exec_lo
	s_wait_alu 0xfffe
	s_or_b32 s24, s20, s13
	s_mov_b32 s20, 0
	s_wait_alu 0xfffe
	s_and_saveexec_b32 s25, s24
	s_cbranch_execz .LBB6_280
	s_branch .LBB6_279
.LBB6_285:                              ;   in Loop: Header=BB6_282 Depth=4
	s_add_co_i32 s20, s20, 1
	s_mov_b32 s23, -1
                                        ; implicit-def: $vgpr10
	s_wait_alu 0xfffe
	s_and_saveexec_b32 s25, s24
	s_cbranch_execz .LBB6_280
	s_branch .LBB6_279
.LBB6_286:                              ;   in Loop: Header=BB6_274 Depth=3
	s_or_b32 exec_lo, exec_lo, s16
	s_wait_alu 0xfffe
	s_xor_b32 s13, s17, -1
	s_wait_alu 0xfffe
	s_and_saveexec_b32 s16, s13
	s_wait_alu 0xfffe
	s_xor_b32 s13, exec_lo, s16
	s_cbranch_execz .LBB6_288
; %bb.287:                              ;   in Loop: Header=BB6_274 Depth=3
	v_or_b32_e32 v30, 64, v30
	s_wait_loadcnt 0x0
	s_wait_storecnt 0x0
	ds_store_b32 v0, v10
	s_trap 2
.LBB6_288:                              ;   in Loop: Header=BB6_274 Depth=3
	s_wait_alu 0xfffe
	s_or_b32 exec_lo, exec_lo, s13
.LBB6_289:                              ;   in Loop: Header=BB6_274 Depth=3
	s_wait_alu 0xfffe
	s_or_b32 exec_lo, exec_lo, s15
	v_and_b32_e32 v10, 0x108, v30
	;;#ASMSTART
	s_wakeup
	;;#ASMEND
	s_delay_alu instid0(VALU_DEP_1)
	v_cmp_ne_u32_e32 vcc_lo, 0x108, v10
                                        ; implicit-def: $vgpr10_vgpr11
	s_and_saveexec_b32 s13, vcc_lo
	s_wait_alu 0xfffe
	s_xor_b32 s13, exec_lo, s13
; %bb.290:                              ;   in Loop: Header=BB6_274 Depth=3
	v_dual_mov_b32 v11, v2 :: v_dual_and_b32 v10, 7, v96
                                        ; implicit-def: $vgpr96_vgpr97
; %bb.291:                              ;   in Loop: Header=BB6_274 Depth=3
	s_wait_alu 0xfffe
	s_and_not1_saveexec_b32 s13, s13
	s_cbranch_execz .LBB6_293
; %bb.292:                              ;   in Loop: Header=BB6_274 Depth=3
	v_dual_mov_b32 v11, v2 :: v_dual_and_b32 v10, 7, v96
	v_ashrrev_i32_e32 v101, 31, v100
	s_delay_alu instid0(VALU_DEP_2)
	v_mad_co_u64_u32 v[12:13], null, v10, 24, v[6:7]
	flat_store_b64 v[12:13], v[100:101] offset:8
.LBB6_293:                              ;   in Loop: Header=BB6_274 Depth=3
	s_wait_alu 0xfffe
	s_or_b32 exec_lo, exec_lo, s13
	v_and_b32_e32 v12, 0x100, v30
	s_mov_b32 s13, -1
	s_delay_alu instid0(VALU_DEP_1)
	v_cmp_ne_u32_e32 vcc_lo, 0, v12
                                        ; implicit-def: $vgpr12_vgpr13
	s_and_saveexec_b32 s15, vcc_lo
	s_cbranch_execz .LBB6_297
; %bb.294:                              ;   in Loop: Header=BB6_274 Depth=3
	v_mad_co_u64_u32 v[14:15], null, v10, 24, v[6:7]
	s_delay_alu instid0(VALU_DEP_1) | instskip(NEXT) | instid1(VALU_DEP_1)
	v_mov_b32_e32 v12, v15
	v_mad_co_u64_u32 v[12:13], null, v11, 24, v[12:13]
	s_delay_alu instid0(VALU_DEP_1)
	v_mov_b32_e32 v15, v12
	flat_load_b32 v12, v[14:15]
	s_wait_loadcnt_dscnt 0x0
	v_cmp_eq_u32_e64 s13, 1, v12
	v_cmp_ne_u32_e32 vcc_lo, 1, v12
                                        ; implicit-def: $vgpr12_vgpr13
	s_wait_alu 0xfffe
	s_and_saveexec_b32 s16, s13
	s_cbranch_execz .LBB6_296
; %bb.295:                              ;   in Loop: Header=BB6_274 Depth=3
	flat_load_b32 v12, v[14:15] offset:4 scope:SCOPE_SYS
	s_wait_loadcnt_dscnt 0x0
	v_ashrrev_i32_e32 v13, 31, v12
.LBB6_296:                              ;   in Loop: Header=BB6_274 Depth=3
	s_wait_alu 0xfffe
	s_or_b32 exec_lo, exec_lo, s16
	s_delay_alu instid0(SALU_CYCLE_1)
	s_or_not1_b32 s13, vcc_lo, exec_lo
.LBB6_297:                              ;   in Loop: Header=BB6_274 Depth=3
	s_wait_alu 0xfffe
	s_or_b32 exec_lo, exec_lo, s15
	s_and_saveexec_b32 s15, s13
; %bb.298:                              ;   in Loop: Header=BB6_274 Depth=3
	v_mul_lo_u32 v11, v11, v132
	v_mul_lo_u32 v14, v10, v134
	v_mad_co_u64_u32 v[12:13], null, v10, v132, 0
	s_delay_alu instid0(VALU_DEP_1)
	v_add3_u32 v13, v13, v14, v11
; %bb.299:                              ;   in Loop: Header=BB6_274 Depth=3
	s_wait_alu 0xfffe
	s_or_b32 exec_lo, exec_lo, s15
	v_cmp_eq_u32_e32 vcc_lo, 0, v3
	v_and_b32_e32 v14, 0x2000, v30
	s_mov_b32 s13, exec_lo
	s_wait_alu 0xfffd
	v_cndmask_b32_e32 v3, 0xc8, v146, vcc_lo
	v_add_co_u32 v10, vcc_lo, v66, v12
	s_wait_alu 0xfffd
	v_add_co_ci_u32_e64 v11, null, v67, v13, vcc_lo
	s_delay_alu instid0(VALU_DEP_3)
	v_add_nc_u32_e32 v3, v0, v3
	ds_store_b64 v3, v[10:11] offset:584
	v_cmpx_ne_u32_e32 0, v14
	s_cbranch_execz .LBB6_301
; %bb.300:                              ;   in Loop: Header=BB6_274 Depth=3
	ds_load_b64 v[10:11], v0 offset:872
	s_wait_dscnt 0x0
	v_add_co_u32 v10, vcc_lo, v10, 1
	s_wait_alu 0xfffd
	v_add_co_ci_u32_e64 v11, null, 0, v11, vcc_lo
	ds_store_b64 v0, v[10:11] offset:872
.LBB6_301:                              ;   in Loop: Header=BB6_274 Depth=3
	s_wait_alu 0xfffe
	s_or_b32 exec_lo, exec_lo, s13
	v_dual_mov_b32 v97, v9 :: v_dual_mov_b32 v96, v8
.LBB6_302:                              ;   in Loop: Header=BB6_274 Depth=3
	s_wait_alu 0xfffe
	s_or_b32 exec_lo, exec_lo, s14
	s_and_saveexec_b32 s13, s2
	s_cbranch_execz .LBB6_321
; %bb.303:                              ;   in Loop: Header=BB6_274 Depth=3
	s_and_saveexec_b32 s14, s3
	s_wait_alu 0xfffe
	s_xor_b32 s14, exec_lo, s14
	s_cbranch_execz .LBB6_318
; %bb.304:                              ;   in Loop: Header=BB6_274 Depth=3
	s_and_saveexec_b32 s15, s6
	s_cbranch_execz .LBB6_317
; %bb.305:                              ;   in Loop: Header=BB6_274 Depth=3
	s_mov_b32 s17, exec_lo
	s_mov_b32 s16, exec_lo
	s_wait_alu 0xfffe
	v_mbcnt_lo_u32_b32 v3, s17, 0
	s_wait_storecnt 0x0
	s_wait_loadcnt_dscnt 0x0
	global_inv scope:SCOPE_DEV
	v_cmpx_eq_u32_e32 0, v3
	s_cbranch_execz .LBB6_307
; %bb.306:                              ;   in Loop: Header=BB6_274 Depth=3
	s_bcnt1_i32_b32 s17, s17
	s_wait_alu 0xfffe
	v_dual_mov_b32 v9, v2 :: v_dual_mov_b32 v8, s17
	s_wait_loadcnt 0x0
	ds_add_u64 v0, v[8:9]
	s_trap 2
.LBB6_307:                              ;   in Loop: Header=BB6_274 Depth=3
	s_or_b32 exec_lo, exec_lo, s16
	s_trap 2
	ds_load_b64 v[8:9], v0
	s_wait_dscnt 0x0
	global_inv scope:SCOPE_SE
	v_add_co_u32 v70, vcc_lo, v70, v135
	s_wait_alu 0xfffd
	v_add_co_ci_u32_e64 v71, null, 0, v71, vcc_lo
	s_mov_b32 s16, exec_lo
	v_cmpx_lt_u64_e64 v[8:9], v[70:71]
	s_cbranch_execz .LBB6_316
; %bb.308:                              ;   in Loop: Header=BB6_274 Depth=3
	s_mov_b32 s17, 0
	s_mov_b32 s20, 0
                                        ; implicit-def: $sgpr18
                                        ; implicit-def: $sgpr19
	s_branch .LBB6_310
.LBB6_309:                              ;   in Loop: Header=BB6_310 Depth=4
	s_wait_alu 0xfffe
	s_or_b32 exec_lo, exec_lo, s22
	s_delay_alu instid0(SALU_CYCLE_1)
	s_and_b32 s21, exec_lo, s23
	s_wait_alu 0xfffe
	s_or_b32 s17, s21, s17
	s_and_not1_b32 s18, s18, exec_lo
	s_and_b32 s21, s19, exec_lo
	s_wait_alu 0xfffe
	s_or_b32 s18, s18, s21
	s_and_not1_b32 exec_lo, exec_lo, s17
	s_cbranch_execz .LBB6_314
.LBB6_310:                              ;   Parent Loop BB6_47 Depth=1
                                        ;     Parent Loop BB6_271 Depth=2
                                        ;       Parent Loop BB6_274 Depth=3
                                        ; =>      This Inner Loop Header: Depth=4
	s_wait_alu 0xfffe
	s_add_co_i32 s20, s20, 1
	s_wait_alu 0xfffe
	s_cmp_lg_u32 s20, 0x2710
	s_cselect_b32 s21, -1, 0
	s_wait_alu 0xfffe
	s_and_b32 vcc_lo, exec_lo, s21
	s_wait_alu 0xfffe
	s_cbranch_vccz .LBB6_312
; %bb.311:                              ;   in Loop: Header=BB6_310 Depth=4
	s_mov_b32 s23, -1
	s_or_b32 s19, s19, exec_lo
	s_and_saveexec_b32 s22, s21
	s_cbranch_execz .LBB6_309
	s_branch .LBB6_313
.LBB6_312:                              ;   in Loop: Header=BB6_310 Depth=4
	s_trap 2
	ds_load_b64 v[8:9], v0
	s_and_not1_b32 s21, s21, exec_lo
	s_mov_b32 s20, 0
	s_wait_loadcnt_dscnt 0x0
	flat_load_b32 v3, v[8:9] scope:SCOPE_SYS
	s_wait_loadcnt_dscnt 0x0
	global_inv scope:SCOPE_SYS
	v_cmp_eq_u32_e32 vcc_lo, 0, v3
	s_and_b32 s22, vcc_lo, exec_lo
	s_wait_alu 0xfffe
	s_or_b32 s21, s21, s22
	s_mov_b32 s23, -1
	s_or_b32 s19, s19, exec_lo
	s_wait_alu 0xfffe
	s_and_saveexec_b32 s22, s21
	s_cbranch_execz .LBB6_309
.LBB6_313:                              ;   in Loop: Header=BB6_310 Depth=4
	s_sleep 1
	s_trap 2
	ds_load_b64 v[8:9], v0
	s_wait_dscnt 0x0
	global_inv scope:SCOPE_SE
	s_wait_alu 0xfffe
	s_and_not1_b32 s19, s19, exec_lo
	v_cmp_ge_u64_e32 vcc_lo, v[8:9], v[70:71]
	s_or_not1_b32 s23, vcc_lo, exec_lo
	s_branch .LBB6_309
.LBB6_314:                              ;   in Loop: Header=BB6_274 Depth=3
	s_or_b32 exec_lo, exec_lo, s17
	s_wait_alu 0xfffe
	s_and_saveexec_b32 s17, s18
	s_wait_alu 0xfffe
	s_xor_b32 s17, exec_lo, s17
	s_cbranch_execz .LBB6_316
; %bb.315:                              ;   in Loop: Header=BB6_274 Depth=3
	ds_store_b32 v0, v145
	s_trap 2
.LBB6_316:                              ;   in Loop: Header=BB6_274 Depth=3
	s_wait_alu 0xfffe
	s_or_b32 exec_lo, exec_lo, s16
	;;#ASMSTART
	s_wakeup
	;;#ASMEND
.LBB6_317:                              ;   in Loop: Header=BB6_274 Depth=3
	s_wait_alu 0xfffe
	s_or_b32 exec_lo, exec_lo, s15
.LBB6_318:                              ;   in Loop: Header=BB6_274 Depth=3
	s_wait_alu 0xfffe
	s_and_not1_saveexec_b32 s14, s14
	s_cbranch_execz .LBB6_320
; %bb.319:                              ;   in Loop: Header=BB6_274 Depth=3
	s_wait_storecnt 0x0
	s_wait_loadcnt_dscnt 0x0
	global_inv scope:SCOPE_DEV
	s_barrier_signal -1
	s_barrier_wait -1
.LBB6_320:                              ;   in Loop: Header=BB6_274 Depth=3
	s_wait_alu 0xfffe
	s_or_b32 exec_lo, exec_lo, s14
.LBB6_321:                              ;   in Loop: Header=BB6_274 Depth=3
	s_wait_alu 0xfffe
	s_or_b32 exec_lo, exec_lo, s13
	s_trap 2
	ds_load_b32 v3, v0
	v_and_b32_e32 v8, 0x4000, v30
	s_xor_b32 s13, s1, -1
	s_delay_alu instid0(VALU_DEP_1)
	v_cmp_ne_u32_e32 vcc_lo, 0, v8
	s_wait_alu 0xfffe
	s_and_b32 s14, s13, vcc_lo
	s_wait_alu 0xfffe
	s_and_saveexec_b32 s13, s14
	s_cbranch_execz .LBB6_340
; %bb.322:                              ;   in Loop: Header=BB6_274 Depth=3
	s_and_saveexec_b32 s14, s3
	s_wait_alu 0xfffe
	s_xor_b32 s14, exec_lo, s14
	s_cbranch_execz .LBB6_337
; %bb.323:                              ;   in Loop: Header=BB6_274 Depth=3
	s_and_saveexec_b32 s15, s6
	s_cbranch_execz .LBB6_336
; %bb.324:                              ;   in Loop: Header=BB6_274 Depth=3
	s_mov_b32 s17, exec_lo
	s_mov_b32 s16, exec_lo
	s_wait_alu 0xfffe
	v_mbcnt_lo_u32_b32 v8, s17, 0
	s_wait_storecnt 0x0
	s_wait_loadcnt_dscnt 0x0
	global_inv scope:SCOPE_DEV
	v_cmpx_eq_u32_e32 0, v8
	s_cbranch_execz .LBB6_326
; %bb.325:                              ;   in Loop: Header=BB6_274 Depth=3
	s_bcnt1_i32_b32 s17, s17
	s_wait_alu 0xfffe
	v_dual_mov_b32 v9, v2 :: v_dual_mov_b32 v8, s17
	s_wait_loadcnt 0x0
	ds_add_u64 v0, v[8:9]
	s_trap 2
.LBB6_326:                              ;   in Loop: Header=BB6_274 Depth=3
	s_or_b32 exec_lo, exec_lo, s16
	s_trap 2
	ds_load_b64 v[8:9], v0
	s_wait_dscnt 0x0
	global_inv scope:SCOPE_SE
	v_add_co_u32 v70, vcc_lo, v70, v135
	s_wait_alu 0xfffd
	v_add_co_ci_u32_e64 v71, null, 0, v71, vcc_lo
	s_mov_b32 s16, exec_lo
	v_cmpx_lt_u64_e64 v[8:9], v[70:71]
	s_cbranch_execz .LBB6_335
; %bb.327:                              ;   in Loop: Header=BB6_274 Depth=3
	s_mov_b32 s17, 0
	s_mov_b32 s20, 0
                                        ; implicit-def: $sgpr18
                                        ; implicit-def: $sgpr19
	s_branch .LBB6_329
.LBB6_328:                              ;   in Loop: Header=BB6_329 Depth=4
	s_wait_alu 0xfffe
	s_or_b32 exec_lo, exec_lo, s22
	s_delay_alu instid0(SALU_CYCLE_1)
	s_and_b32 s21, exec_lo, s23
	s_wait_alu 0xfffe
	s_or_b32 s17, s21, s17
	s_and_not1_b32 s18, s18, exec_lo
	s_and_b32 s21, s19, exec_lo
	s_wait_alu 0xfffe
	s_or_b32 s18, s18, s21
	s_and_not1_b32 exec_lo, exec_lo, s17
	s_cbranch_execz .LBB6_333
.LBB6_329:                              ;   Parent Loop BB6_47 Depth=1
                                        ;     Parent Loop BB6_271 Depth=2
                                        ;       Parent Loop BB6_274 Depth=3
                                        ; =>      This Inner Loop Header: Depth=4
	s_wait_alu 0xfffe
	s_add_co_i32 s20, s20, 1
	s_wait_alu 0xfffe
	s_cmp_lg_u32 s20, 0x2710
	s_cselect_b32 s21, -1, 0
	s_wait_alu 0xfffe
	s_and_b32 vcc_lo, exec_lo, s21
	s_wait_alu 0xfffe
	s_cbranch_vccz .LBB6_331
; %bb.330:                              ;   in Loop: Header=BB6_329 Depth=4
	s_mov_b32 s23, -1
	s_or_b32 s19, s19, exec_lo
	s_and_saveexec_b32 s22, s21
	s_cbranch_execz .LBB6_328
	s_branch .LBB6_332
.LBB6_331:                              ;   in Loop: Header=BB6_329 Depth=4
	s_trap 2
	ds_load_b64 v[8:9], v0
	s_and_not1_b32 s21, s21, exec_lo
	s_mov_b32 s20, 0
	s_wait_loadcnt_dscnt 0x0
	flat_load_b32 v8, v[8:9] scope:SCOPE_SYS
	s_wait_loadcnt_dscnt 0x0
	global_inv scope:SCOPE_SYS
	v_cmp_eq_u32_e32 vcc_lo, 0, v8
	s_and_b32 s22, vcc_lo, exec_lo
	s_wait_alu 0xfffe
	s_or_b32 s21, s21, s22
	s_mov_b32 s23, -1
	s_or_b32 s19, s19, exec_lo
	s_wait_alu 0xfffe
	s_and_saveexec_b32 s22, s21
	s_cbranch_execz .LBB6_328
.LBB6_332:                              ;   in Loop: Header=BB6_329 Depth=4
	s_sleep 1
	s_trap 2
	ds_load_b64 v[8:9], v0
	s_wait_dscnt 0x0
	global_inv scope:SCOPE_SE
	s_wait_alu 0xfffe
	s_and_not1_b32 s19, s19, exec_lo
	v_cmp_ge_u64_e32 vcc_lo, v[8:9], v[70:71]
	s_or_not1_b32 s23, vcc_lo, exec_lo
	s_branch .LBB6_328
.LBB6_333:                              ;   in Loop: Header=BB6_274 Depth=3
	s_or_b32 exec_lo, exec_lo, s17
	s_wait_alu 0xfffe
	s_and_saveexec_b32 s17, s18
	s_wait_alu 0xfffe
	s_xor_b32 s17, exec_lo, s17
	s_cbranch_execz .LBB6_335
; %bb.334:                              ;   in Loop: Header=BB6_274 Depth=3
	ds_store_b32 v0, v145
	s_trap 2
.LBB6_335:                              ;   in Loop: Header=BB6_274 Depth=3
	s_wait_alu 0xfffe
	s_or_b32 exec_lo, exec_lo, s16
	;;#ASMSTART
	s_wakeup
	;;#ASMEND
.LBB6_336:                              ;   in Loop: Header=BB6_274 Depth=3
	s_wait_alu 0xfffe
	s_or_b32 exec_lo, exec_lo, s15
.LBB6_337:                              ;   in Loop: Header=BB6_274 Depth=3
	s_wait_alu 0xfffe
	s_and_not1_saveexec_b32 s14, s14
	s_cbranch_execz .LBB6_339
; %bb.338:                              ;   in Loop: Header=BB6_274 Depth=3
	s_wait_storecnt 0x0
	s_wait_loadcnt_dscnt 0x0
	global_inv scope:SCOPE_DEV
	s_barrier_signal -1
	s_barrier_wait -1
.LBB6_339:                              ;   in Loop: Header=BB6_274 Depth=3
	s_wait_alu 0xfffe
	s_or_b32 exec_lo, exec_lo, s14
.LBB6_340:                              ;   in Loop: Header=BB6_274 Depth=3
	s_wait_alu 0xfffe
	s_or_b32 exec_lo, exec_lo, s13
	s_trap 2
	ds_load_b64 v[112:113], v0
	s_wait_dscnt 0x0
	v_cmp_eq_u64_e32 vcc_lo, 0, v[112:113]
	s_cbranch_vccnz .LBB6_348
; %bb.341:                              ;   in Loop: Header=BB6_274 Depth=3
	s_trap 2
	ds_load_b64 v[114:115], v0
	s_wait_dscnt 0x0
	v_cmp_eq_u64_e32 vcc_lo, 0, v[114:115]
	s_cbranch_vccnz .LBB6_348
; %bb.342:                              ;   in Loop: Header=BB6_274 Depth=3
	s_mov_b32 s13, -1
	s_and_saveexec_b32 s14, s12
	s_cbranch_execz .LBB6_344
; %bb.343:                              ;   in Loop: Header=BB6_274 Depth=3
	ds_load_b32 v8, v0 offset:720
	s_wait_dscnt 0x0
	v_and_b32_e32 v8, 15, v8
	s_delay_alu instid0(VALU_DEP_1)
	v_cmp_eq_u32_e32 vcc_lo, 0, v8
	s_or_not1_b32 s13, vcc_lo, exec_lo
.LBB6_344:                              ;   in Loop: Header=BB6_274 Depth=3
	s_wait_alu 0xfffe
	s_or_b32 exec_lo, exec_lo, s14
	s_and_saveexec_b32 s14, s11
	s_cbranch_execz .LBB6_346
; %bb.345:                              ;   in Loop: Header=BB6_274 Depth=3
	ds_load_b32 v8, v0 offset:784
	s_wait_dscnt 0x0
	v_and_b32_e32 v8, 15, v8
	s_delay_alu instid0(VALU_DEP_1)
	v_cmp_eq_u32_e32 vcc_lo, 0, v8
	s_and_b32 s15, s13, vcc_lo
	s_and_not1_b32 s13, s13, exec_lo
	s_wait_alu 0xfffe
	s_and_b32 s15, s15, exec_lo
	s_wait_alu 0xfffe
	s_or_b32 s13, s13, s15
.LBB6_346:                              ;   in Loop: Header=BB6_274 Depth=3
	s_wait_alu 0xfffe
	s_or_b32 exec_lo, exec_lo, s14
	v_cmp_eq_u32_e32 vcc_lo, 0, v3
	s_xor_b32 s13, s13, -1
	v_mov_b32_e32 v14, 0
	s_wait_alu 0xfffe
	v_cndmask_b32_e64 v8, 0, 1, s13
	s_mov_b32 s13, -1
	s_wait_alu 0xfffd
	v_dual_cndmask_b32 v3, 0, v100 :: v_dual_mov_b32 v16, v0
	s_delay_alu instid0(VALU_DEP_2) | instskip(NEXT) | instid1(VALU_DEP_2)
	v_cmp_ne_u32_e32 vcc_lo, 0, v8
	v_dual_mov_b32 v8, v163 :: v_dual_mov_b32 v15, v3
	s_cbranch_vccz .LBB6_353
; %bb.347:                              ;   in Loop: Header=BB6_274 Depth=3
	s_wait_alu 0xfffe
	s_and_saveexec_b32 s48, s13
	s_cbranch_execnz .LBB6_366
	s_branch .LBB6_374
.LBB6_348:                              ;   in Loop: Header=BB6_274 Depth=3
	s_mov_b32 s13, 0
	s_and_saveexec_b32 s14, s2
	s_cbranch_execnz .LBB6_375
.LBB6_349:                              ;   in Loop: Header=BB6_274 Depth=3
	s_wait_alu 0xfffe
	s_or_b32 exec_lo, exec_lo, s14
                                        ; implicit-def: $vgpr3
	s_and_saveexec_b32 s14, s10
	s_wait_alu 0xfffe
	s_xor_b32 s14, exec_lo, s14
	s_cbranch_execz .LBB6_393
.LBB6_350:                              ;   in Loop: Header=BB6_274 Depth=3
	v_and_b32_e32 v3, 16, v30
	s_delay_alu instid0(VALU_DEP_1)
	v_cmp_ne_u32_e32 vcc_lo, 0, v3
	v_and_b32_e32 v3, 16, v30
	s_and_b32 s15, vcc_lo, s13
	s_wait_alu 0xfffe
	s_and_saveexec_b32 s13, s15
	s_cbranch_execz .LBB6_352
; %bb.351:                              ;   in Loop: Header=BB6_274 Depth=3
	v_mov_b32_e32 v3, 1
	global_wb scope:SCOPE_SYS
	s_wait_storecnt 0x0
	s_wait_loadcnt_dscnt 0x0
	global_inv scope:SCOPE_SYS
.LBB6_352:                              ;   in Loop: Header=BB6_274 Depth=3
	s_wait_alu 0xfffe
	s_or_b32 exec_lo, exec_lo, s13
	s_and_not1_saveexec_b32 s13, s14
	s_cbranch_execz .LBB6_412
	s_branch .LBB6_394
.LBB6_353:                              ;   in Loop: Header=BB6_274 Depth=3
	v_ashrrev_i32_e32 v8, 31, v3
	s_mov_b32 s13, exec_lo
	s_delay_alu instid0(VALU_DEP_1) | instskip(NEXT) | instid1(VALU_DEP_1)
	v_lshrrev_b32_e32 v8, 21, v8
	v_add_nc_u32_e32 v8, v3, v8
	s_delay_alu instid0(VALU_DEP_1) | instskip(NEXT) | instid1(VALU_DEP_1)
	v_ashrrev_i32_e32 v40, 11, v8
	v_sub_nc_u32_e32 v101, v40, v163
	s_delay_alu instid0(VALU_DEP_1)
	v_cmpx_lt_i32_e32 0, v101
	s_cbranch_execz .LBB6_357
; %bb.354:                              ;   in Loop: Header=BB6_274 Depth=3
	s_trap 2
	ds_load_b64 v[8:9], v0
	v_add_co_u32 v116, vcc_lo, v112, v179
	s_wait_alu 0xfffd
	v_add_co_ci_u32_e64 v117, null, v113, v181, vcc_lo
	s_mov_b32 s14, 0
	s_wait_dscnt 0x0
	v_add_co_u32 v118, vcc_lo, v8, v179
	s_wait_alu 0xfffd
	v_add_co_ci_u32_e64 v119, null, v9, v181, vcc_lo
	v_add_co_u32 v128, vcc_lo, v114, v179
	s_wait_alu 0xfffd
	v_add_co_ci_u32_e64 v129, null, v115, v181, vcc_lo
.LBB6_355:                              ;   Parent Loop BB6_47 Depth=1
                                        ;     Parent Loop BB6_271 Depth=2
                                        ;       Parent Loop BB6_274 Depth=3
                                        ; =>      This Inner Loop Header: Depth=4
	s_clause 0x3
	global_load_b128 v[48:51], v[116:117], off th:TH_LOAD_NT
	global_load_b128 v[36:39], v[116:117], off offset:512 th:TH_LOAD_NT
	global_load_b128 v[16:19], v[116:117], off offset:1024 th:TH_LOAD_NT
	;; [unrolled: 1-line block ×3, first 2 shown]
	s_clause 0x3
	global_load_b128 v[8:11], v[118:119], off th:TH_LOAD_NT
	global_load_b128 v[12:15], v[118:119], off offset:512 th:TH_LOAD_NT
	global_load_b128 v[32:35], v[118:119], off offset:1024 th:TH_LOAD_NT
	;; [unrolled: 1-line block ×3, first 2 shown]
	v_sub_nc_u32_e32 v101, v101, v135
	s_wait_loadcnt 0x7
	v_and_b32_e32 v41, 0xff, v48
	s_wait_loadcnt 0x3
	v_bfe_u32 v43, v8, 8, 8
	s_delay_alu instid0(VALU_DEP_2) | instskip(SKIP_1) | instid1(VALU_DEP_3)
	v_cvt_f32_bf8_e32 v41, v41
	v_lshrrev_b32_e32 v44, 24, v8
	v_cvt_f32_bf8_e32 v43, v43
	v_and_b32_e32 v42, 0xff, v8
	v_bfe_u32 v8, v8, 16, 8
	s_delay_alu instid0(VALU_DEP_2) | instskip(NEXT) | instid1(VALU_DEP_2)
	v_cvt_f32_bf8_e32 v42, v42
	v_cvt_f32_bf8_e32 v8, v8
	s_delay_alu instid0(VALU_DEP_2) | instskip(NEXT) | instid1(VALU_DEP_1)
	v_mul_f32_e32 v41, v41, v42
	v_cmp_nlg_f32_e64 vcc_lo, 0x7f800000, |v41|
	v_med3_num_f32 v42, v41, s89, 0xc7600000
	s_wait_alu 0xfffd
	s_delay_alu instid0(VALU_DEP_1) | instskip(NEXT) | instid1(VALU_DEP_1)
	v_dual_cndmask_b32 v41, v42, v41 :: v_dual_mov_b32 v42, 0
	v_cvt_pk_bf8_f32 v42, v41, v41
	v_bfe_u32 v41, v48, 8, 8
	s_delay_alu instid0(VALU_DEP_1) | instskip(NEXT) | instid1(VALU_DEP_1)
	v_cvt_f32_bf8_e32 v41, v41
	v_mul_f32_e32 v41, v41, v43
	s_delay_alu instid0(VALU_DEP_1) | instskip(SKIP_2) | instid1(VALU_DEP_1)
	v_cmp_nlg_f32_e64 vcc_lo, 0x7f800000, |v41|
	v_med3_num_f32 v43, v41, s89, 0xc7600000
	s_wait_alu 0xfffd
	v_cndmask_b32_e32 v41, v43, v41, vcc_lo
	v_mov_b32_e32 v43, 0
	s_delay_alu instid0(VALU_DEP_1) | instskip(NEXT) | instid1(VALU_DEP_1)
	v_cvt_pk_bf8_f32 v43, v41, v41
	v_lshlrev_b32_e32 v41, 8, v43
	v_lshrrev_b32_e32 v43, 24, v48
	v_bfe_u32 v48, v48, 16, 8
	s_delay_alu instid0(VALU_DEP_1) | instskip(NEXT) | instid1(VALU_DEP_1)
	v_cvt_f32_bf8_e32 v48, v48
	v_mul_f32_e32 v8, v48, v8
	s_delay_alu instid0(VALU_DEP_1) | instskip(SKIP_2) | instid1(VALU_DEP_1)
	v_cmp_nlg_f32_e64 vcc_lo, 0x7f800000, |v8|
	v_med3_num_f32 v48, v8, s89, 0xc7600000
	s_wait_alu 0xfffd
	v_cndmask_b32_e32 v8, v48, v8, vcc_lo
	v_mov_b32_e32 v48, 0
	s_delay_alu instid0(VALU_DEP_1) | instskip(NEXT) | instid1(VALU_DEP_1)
	v_cvt_pk_bf8_f32 v48, v8, v8
	v_and_b32_e32 v8, 0xff, v48
	v_cvt_f32_bf8_e32 v48, v43
	v_cvt_f32_bf8_e32 v43, v44
	s_delay_alu instid0(VALU_DEP_3) | instskip(NEXT) | instid1(VALU_DEP_2)
	v_lshlrev_b32_e32 v8, 16, v8
	v_mul_f32_e32 v48, v48, v43
	s_delay_alu instid0(VALU_DEP_1) | instskip(SKIP_2) | instid1(VALU_DEP_1)
	v_cmp_nlg_f32_e64 vcc_lo, 0x7f800000, |v48|
	v_med3_num_f32 v43, v48, s89, 0xc7600000
	s_wait_alu 0xfffd
	v_dual_cndmask_b32 v48, v43, v48 :: v_dual_mov_b32 v43, 0
	v_perm_b32 v41, v41, v42, 0xc0c0500
	v_bfe_u32 v42, v9, 8, 8
	s_delay_alu instid0(VALU_DEP_3) | instskip(NEXT) | instid1(VALU_DEP_2)
	v_cvt_pk_bf8_f32 v43, v48, v48
	v_cvt_f32_bf8_e32 v42, v42
	s_delay_alu instid0(VALU_DEP_2) | instskip(SKIP_1) | instid1(VALU_DEP_2)
	v_lshlrev_b32_e32 v48, 24, v43
	v_lshrrev_b32_e32 v43, 24, v9
	v_or3_b32 v8, v48, v8, v41
	v_and_b32_e32 v48, 0xff, v49
	v_and_b32_e32 v41, 0xff, v9
	v_bfe_u32 v9, v9, 16, 8
	s_delay_alu instid0(VALU_DEP_3) | instskip(NEXT) | instid1(VALU_DEP_3)
	v_cvt_f32_bf8_e32 v48, v48
	v_cvt_f32_bf8_e32 v41, v41
	s_delay_alu instid0(VALU_DEP_3) | instskip(NEXT) | instid1(VALU_DEP_2)
	v_cvt_f32_bf8_e32 v9, v9
	v_mul_f32_e32 v48, v48, v41
	s_delay_alu instid0(VALU_DEP_1) | instskip(SKIP_2) | instid1(VALU_DEP_1)
	v_cmp_nlg_f32_e64 vcc_lo, 0x7f800000, |v48|
	v_med3_num_f32 v41, v48, s89, 0xc7600000
	s_wait_alu 0xfffd
	v_dual_cndmask_b32 v48, v41, v48 :: v_dual_mov_b32 v41, 0
	s_delay_alu instid0(VALU_DEP_1) | instskip(SKIP_1) | instid1(VALU_DEP_1)
	v_cvt_pk_bf8_f32 v41, v48, v48
	v_bfe_u32 v48, v49, 8, 8
	v_cvt_f32_bf8_e32 v48, v48
	s_delay_alu instid0(VALU_DEP_1) | instskip(NEXT) | instid1(VALU_DEP_1)
	v_mul_f32_e32 v48, v48, v42
	v_cmp_nlg_f32_e64 vcc_lo, 0x7f800000, |v48|
	v_med3_num_f32 v42, v48, s89, 0xc7600000
	s_wait_alu 0xfffd
	s_delay_alu instid0(VALU_DEP_1) | instskip(SKIP_1) | instid1(VALU_DEP_1)
	v_cndmask_b32_e32 v48, v42, v48, vcc_lo
	v_mov_b32_e32 v42, 0
	v_cvt_pk_bf8_f32 v42, v48, v48
	s_delay_alu instid0(VALU_DEP_1) | instskip(SKIP_2) | instid1(VALU_DEP_1)
	v_lshlrev_b32_e32 v48, 8, v42
	v_lshrrev_b32_e32 v42, 24, v49
	v_bfe_u32 v49, v49, 16, 8
	v_cvt_f32_bf8_e32 v49, v49
	s_delay_alu instid0(VALU_DEP_1) | instskip(NEXT) | instid1(VALU_DEP_1)
	v_mul_f32_e32 v9, v49, v9
	v_cmp_nlg_f32_e64 vcc_lo, 0x7f800000, |v9|
	v_med3_num_f32 v49, v9, s89, 0xc7600000
	s_wait_alu 0xfffd
	s_delay_alu instid0(VALU_DEP_1) | instskip(SKIP_1) | instid1(VALU_DEP_1)
	v_cndmask_b32_e32 v9, v49, v9, vcc_lo
	v_mov_b32_e32 v49, 0
	v_cvt_pk_bf8_f32 v49, v9, v9
	s_delay_alu instid0(VALU_DEP_1) | instskip(SKIP_2) | instid1(VALU_DEP_3)
	v_and_b32_e32 v9, 0xff, v49
	v_cvt_f32_bf8_e32 v49, v42
	v_cvt_f32_bf8_e32 v42, v43
	v_lshlrev_b32_e32 v9, 16, v9
	s_delay_alu instid0(VALU_DEP_2) | instskip(NEXT) | instid1(VALU_DEP_1)
	v_mul_f32_e32 v49, v49, v42
	v_cmp_nlg_f32_e64 vcc_lo, 0x7f800000, |v49|
	v_med3_num_f32 v42, v49, s89, 0xc7600000
	s_wait_alu 0xfffd
	s_delay_alu instid0(VALU_DEP_1) | instskip(SKIP_2) | instid1(VALU_DEP_3)
	v_dual_cndmask_b32 v49, v42, v49 :: v_dual_mov_b32 v42, 0
	v_perm_b32 v48, v48, v41, 0xc0c0500
	v_bfe_u32 v41, v10, 8, 8
	v_cvt_pk_bf8_f32 v42, v49, v49
	s_delay_alu instid0(VALU_DEP_2) | instskip(NEXT) | instid1(VALU_DEP_2)
	v_cvt_f32_bf8_e32 v41, v41
	v_lshlrev_b32_e32 v49, 24, v42
	v_lshrrev_b32_e32 v42, 24, v10
	s_delay_alu instid0(VALU_DEP_2) | instskip(SKIP_3) | instid1(VALU_DEP_3)
	v_or3_b32 v9, v49, v9, v48
	v_and_b32_e32 v48, 0xff, v50
	v_and_b32_e32 v49, 0xff, v10
	v_bfe_u32 v10, v10, 16, 8
	v_cvt_f32_bf8_e32 v48, v48
	s_delay_alu instid0(VALU_DEP_3) | instskip(NEXT) | instid1(VALU_DEP_3)
	v_cvt_f32_bf8_e32 v49, v49
	v_cvt_f32_bf8_e32 v10, v10
	s_delay_alu instid0(VALU_DEP_2) | instskip(NEXT) | instid1(VALU_DEP_1)
	v_mul_f32_e32 v48, v48, v49
	v_cmp_nlg_f32_e64 vcc_lo, 0x7f800000, |v48|
	v_med3_num_f32 v49, v48, s89, 0xc7600000
	s_wait_alu 0xfffd
	s_delay_alu instid0(VALU_DEP_1) | instskip(NEXT) | instid1(VALU_DEP_1)
	v_dual_cndmask_b32 v48, v49, v48 :: v_dual_mov_b32 v49, 0
	v_cvt_pk_bf8_f32 v49, v48, v48
	v_bfe_u32 v48, v50, 8, 8
	s_delay_alu instid0(VALU_DEP_1) | instskip(NEXT) | instid1(VALU_DEP_1)
	v_cvt_f32_bf8_e32 v48, v48
	v_mul_f32_e32 v48, v48, v41
	s_delay_alu instid0(VALU_DEP_1) | instskip(SKIP_2) | instid1(VALU_DEP_1)
	v_cmp_nlg_f32_e64 vcc_lo, 0x7f800000, |v48|
	v_med3_num_f32 v41, v48, s89, 0xc7600000
	s_wait_alu 0xfffd
	v_dual_cndmask_b32 v48, v41, v48 :: v_dual_mov_b32 v41, 0
	s_delay_alu instid0(VALU_DEP_1) | instskip(NEXT) | instid1(VALU_DEP_1)
	v_cvt_pk_bf8_f32 v41, v48, v48
	v_lshlrev_b32_e32 v48, 8, v41
	v_lshrrev_b32_e32 v41, 24, v50
	v_bfe_u32 v50, v50, 16, 8
	s_delay_alu instid0(VALU_DEP_3) | instskip(SKIP_1) | instid1(VALU_DEP_3)
	v_perm_b32 v48, v48, v49, 0xc0c0500
	v_and_b32_e32 v49, 0xff, v11
	v_cvt_f32_bf8_e32 v50, v50
	s_delay_alu instid0(VALU_DEP_2) | instskip(NEXT) | instid1(VALU_DEP_2)
	v_cvt_f32_bf8_e32 v49, v49
	v_mul_f32_e32 v10, v50, v10
	s_delay_alu instid0(VALU_DEP_1) | instskip(SKIP_2) | instid1(VALU_DEP_1)
	v_cmp_nlg_f32_e64 vcc_lo, 0x7f800000, |v10|
	v_med3_num_f32 v50, v10, s89, 0xc7600000
	s_wait_alu 0xfffd
	v_cndmask_b32_e32 v10, v50, v10, vcc_lo
	v_mov_b32_e32 v50, 0
	s_delay_alu instid0(VALU_DEP_1) | instskip(NEXT) | instid1(VALU_DEP_1)
	v_cvt_pk_bf8_f32 v50, v10, v10
	v_and_b32_e32 v10, 0xff, v50
	v_cvt_f32_bf8_e32 v50, v41
	v_cvt_f32_bf8_e32 v41, v42
	s_delay_alu instid0(VALU_DEP_3) | instskip(NEXT) | instid1(VALU_DEP_2)
	v_lshlrev_b32_e32 v10, 16, v10
	v_mul_f32_e32 v50, v50, v41
	s_delay_alu instid0(VALU_DEP_1) | instskip(SKIP_2) | instid1(VALU_DEP_1)
	v_cmp_nlg_f32_e64 vcc_lo, 0x7f800000, |v50|
	v_med3_num_f32 v41, v50, s89, 0xc7600000
	s_wait_alu 0xfffd
	v_dual_cndmask_b32 v50, v41, v50 :: v_dual_mov_b32 v41, 0
	s_delay_alu instid0(VALU_DEP_1) | instskip(NEXT) | instid1(VALU_DEP_1)
	v_cvt_pk_bf8_f32 v41, v50, v50
	v_lshlrev_b32_e32 v50, 24, v41
	v_lshrrev_b32_e32 v41, 24, v11
	s_delay_alu instid0(VALU_DEP_2) | instskip(SKIP_3) | instid1(VALU_DEP_3)
	v_or3_b32 v10, v50, v10, v48
	v_and_b32_e32 v48, 0xff, v51
	v_bfe_u32 v50, v11, 8, 8
	v_bfe_u32 v11, v11, 16, 8
	v_cvt_f32_bf8_e32 v48, v48
	s_delay_alu instid0(VALU_DEP_3) | instskip(NEXT) | instid1(VALU_DEP_3)
	v_cvt_f32_bf8_e32 v50, v50
	v_cvt_f32_bf8_e32 v11, v11
	s_delay_alu instid0(VALU_DEP_3) | instskip(NEXT) | instid1(VALU_DEP_1)
	v_mul_f32_e32 v48, v48, v49
	v_cmp_nlg_f32_e64 vcc_lo, 0x7f800000, |v48|
	v_med3_num_f32 v49, v48, s89, 0xc7600000
	s_wait_alu 0xfffd
	s_delay_alu instid0(VALU_DEP_1) | instskip(NEXT) | instid1(VALU_DEP_1)
	v_dual_cndmask_b32 v48, v49, v48 :: v_dual_mov_b32 v49, 0
	v_cvt_pk_bf8_f32 v49, v48, v48
	v_bfe_u32 v48, v51, 8, 8
	s_delay_alu instid0(VALU_DEP_1) | instskip(NEXT) | instid1(VALU_DEP_1)
	v_cvt_f32_bf8_e32 v48, v48
	v_mul_f32_e32 v48, v48, v50
	s_delay_alu instid0(VALU_DEP_1) | instskip(SKIP_2) | instid1(VALU_DEP_1)
	v_cmp_nlg_f32_e64 vcc_lo, 0x7f800000, |v48|
	v_med3_num_f32 v50, v48, s89, 0xc7600000
	s_wait_alu 0xfffd
	v_cndmask_b32_e32 v48, v50, v48, vcc_lo
	v_mov_b32_e32 v50, 0
	s_delay_alu instid0(VALU_DEP_1) | instskip(NEXT) | instid1(VALU_DEP_1)
	v_cvt_pk_bf8_f32 v50, v48, v48
	v_lshlrev_b32_e32 v48, 8, v50
	v_lshrrev_b32_e32 v50, 24, v51
	v_bfe_u32 v51, v51, 16, 8
	s_delay_alu instid0(VALU_DEP_3) | instskip(NEXT) | instid1(VALU_DEP_3)
	v_perm_b32 v48, v48, v49, 0xc0c0500
	v_cvt_f32_bf8_e32 v50, v50
	s_delay_alu instid0(VALU_DEP_3) | instskip(SKIP_2) | instid1(VALU_DEP_2)
	v_cvt_f32_bf8_e32 v51, v51
	s_wait_loadcnt 0x2
	v_and_b32_e32 v49, 0xff, v12
	v_mul_f32_e32 v11, v51, v11
	s_delay_alu instid0(VALU_DEP_2) | instskip(NEXT) | instid1(VALU_DEP_2)
	v_cvt_f32_bf8_e32 v49, v49
	v_cmp_nlg_f32_e64 vcc_lo, 0x7f800000, |v11|
	v_med3_num_f32 v51, v11, s89, 0xc7600000
	s_wait_alu 0xfffd
	s_delay_alu instid0(VALU_DEP_1) | instskip(SKIP_1) | instid1(VALU_DEP_1)
	v_cndmask_b32_e32 v11, v51, v11, vcc_lo
	v_mov_b32_e32 v51, 0
	v_cvt_pk_bf8_f32 v51, v11, v11
	s_delay_alu instid0(VALU_DEP_1) | instskip(SKIP_1) | instid1(VALU_DEP_2)
	v_and_b32_e32 v11, 0xff, v51
	v_cvt_f32_bf8_e32 v51, v41
	v_lshlrev_b32_e32 v11, 16, v11
	s_delay_alu instid0(VALU_DEP_2) | instskip(NEXT) | instid1(VALU_DEP_1)
	v_mul_f32_e32 v50, v50, v51
	v_cmp_nlg_f32_e64 vcc_lo, 0x7f800000, |v50|
	v_med3_num_f32 v51, v50, s89, 0xc7600000
	s_wait_alu 0xfffd
	s_delay_alu instid0(VALU_DEP_1) | instskip(NEXT) | instid1(VALU_DEP_1)
	v_dual_cndmask_b32 v50, v51, v50 :: v_dual_mov_b32 v51, 0
	v_cvt_pk_bf8_f32 v51, v50, v50
	s_delay_alu instid0(VALU_DEP_1) | instskip(SKIP_1) | instid1(VALU_DEP_2)
	v_lshlrev_b32_e32 v50, 24, v51
	v_lshrrev_b32_e32 v51, 24, v12
	v_or3_b32 v11, v50, v11, v48
	v_and_b32_e32 v48, 0xff, v36
	v_bfe_u32 v50, v12, 8, 8
	v_bfe_u32 v12, v12, 16, 8
	s_delay_alu instid0(VALU_DEP_3) | instskip(NEXT) | instid1(VALU_DEP_3)
	v_cvt_f32_bf8_e32 v48, v48
	v_cvt_f32_bf8_e32 v50, v50
	s_delay_alu instid0(VALU_DEP_3) | instskip(NEXT) | instid1(VALU_DEP_3)
	v_cvt_f32_bf8_e32 v12, v12
	v_mul_f32_e32 v48, v48, v49
	s_delay_alu instid0(VALU_DEP_1) | instskip(SKIP_2) | instid1(VALU_DEP_1)
	v_cmp_nlg_f32_e64 vcc_lo, 0x7f800000, |v48|
	v_med3_num_f32 v49, v48, s89, 0xc7600000
	s_wait_alu 0xfffd
	v_dual_cndmask_b32 v48, v49, v48 :: v_dual_mov_b32 v49, 0
	s_delay_alu instid0(VALU_DEP_1) | instskip(SKIP_1) | instid1(VALU_DEP_1)
	v_cvt_pk_bf8_f32 v49, v48, v48
	v_bfe_u32 v48, v36, 8, 8
	v_cvt_f32_bf8_e32 v48, v48
	s_delay_alu instid0(VALU_DEP_1) | instskip(NEXT) | instid1(VALU_DEP_1)
	v_mul_f32_e32 v48, v48, v50
	v_cmp_nlg_f32_e64 vcc_lo, 0x7f800000, |v48|
	v_med3_num_f32 v50, v48, s89, 0xc7600000
	s_wait_alu 0xfffd
	s_delay_alu instid0(VALU_DEP_1) | instskip(SKIP_1) | instid1(VALU_DEP_1)
	v_cndmask_b32_e32 v48, v50, v48, vcc_lo
	v_mov_b32_e32 v50, 0
	v_cvt_pk_bf8_f32 v50, v48, v48
	s_delay_alu instid0(VALU_DEP_1) | instskip(SKIP_2) | instid1(VALU_DEP_3)
	v_lshlrev_b32_e32 v48, 8, v50
	v_lshrrev_b32_e32 v50, 24, v36
	v_bfe_u32 v36, v36, 16, 8
	v_perm_b32 v48, v48, v49, 0xc0c0500
	v_bfe_u32 v49, v13, 8, 8
	s_delay_alu instid0(VALU_DEP_3) | instskip(NEXT) | instid1(VALU_DEP_2)
	v_cvt_f32_bf8_e32 v36, v36
	v_cvt_f32_bf8_e32 v49, v49
	s_delay_alu instid0(VALU_DEP_2) | instskip(NEXT) | instid1(VALU_DEP_1)
	v_mul_f32_e32 v12, v36, v12
	v_cmp_nlg_f32_e64 vcc_lo, 0x7f800000, |v12|
	v_med3_num_f32 v36, v12, s89, 0xc7600000
	s_wait_alu 0xfffd
	s_delay_alu instid0(VALU_DEP_1) | instskip(SKIP_1) | instid1(VALU_DEP_1)
	v_cndmask_b32_e32 v12, v36, v12, vcc_lo
	v_mov_b32_e32 v36, 0
	v_cvt_pk_bf8_f32 v36, v12, v12
	s_delay_alu instid0(VALU_DEP_1) | instskip(SKIP_2) | instid1(VALU_DEP_3)
	v_and_b32_e32 v12, 0xff, v36
	v_cvt_f32_bf8_e32 v36, v50
	v_cvt_f32_bf8_e32 v50, v51
	v_lshlrev_b32_e32 v12, 16, v12
	s_delay_alu instid0(VALU_DEP_2) | instskip(NEXT) | instid1(VALU_DEP_1)
	v_mul_f32_e32 v36, v36, v50
	v_cmp_nlg_f32_e64 vcc_lo, 0x7f800000, |v36|
	v_med3_num_f32 v50, v36, s89, 0xc7600000
	s_wait_alu 0xfffd
	s_delay_alu instid0(VALU_DEP_1) | instskip(SKIP_1) | instid1(VALU_DEP_1)
	v_cndmask_b32_e32 v36, v50, v36, vcc_lo
	v_mov_b32_e32 v50, 0
	v_cvt_pk_bf8_f32 v50, v36, v36
	s_delay_alu instid0(VALU_DEP_1) | instskip(SKIP_1) | instid1(VALU_DEP_2)
	v_lshlrev_b32_e32 v36, 24, v50
	v_lshrrev_b32_e32 v50, 24, v13
	v_or3_b32 v12, v36, v12, v48
	v_and_b32_e32 v36, 0xff, v37
	v_and_b32_e32 v48, 0xff, v13
	v_bfe_u32 v13, v13, 16, 8
	s_delay_alu instid0(VALU_DEP_3) | instskip(NEXT) | instid1(VALU_DEP_3)
	v_cvt_f32_bf8_e32 v36, v36
	v_cvt_f32_bf8_e32 v48, v48
	s_delay_alu instid0(VALU_DEP_3) | instskip(NEXT) | instid1(VALU_DEP_2)
	v_cvt_f32_bf8_e32 v13, v13
	v_mul_f32_e32 v36, v36, v48
	s_delay_alu instid0(VALU_DEP_1) | instskip(SKIP_2) | instid1(VALU_DEP_1)
	v_cmp_nlg_f32_e64 vcc_lo, 0x7f800000, |v36|
	v_med3_num_f32 v48, v36, s89, 0xc7600000
	s_wait_alu 0xfffd
	v_cndmask_b32_e32 v36, v48, v36, vcc_lo
	v_mov_b32_e32 v48, 0
	s_delay_alu instid0(VALU_DEP_1) | instskip(SKIP_1) | instid1(VALU_DEP_1)
	v_cvt_pk_bf8_f32 v48, v36, v36
	v_bfe_u32 v36, v37, 8, 8
	v_cvt_f32_bf8_e32 v36, v36
	s_delay_alu instid0(VALU_DEP_1) | instskip(NEXT) | instid1(VALU_DEP_1)
	v_mul_f32_e32 v36, v36, v49
	v_cmp_nlg_f32_e64 vcc_lo, 0x7f800000, |v36|
	v_med3_num_f32 v49, v36, s89, 0xc7600000
	s_wait_alu 0xfffd
	s_delay_alu instid0(VALU_DEP_1) | instskip(NEXT) | instid1(VALU_DEP_1)
	v_dual_cndmask_b32 v36, v49, v36 :: v_dual_mov_b32 v49, 0
	v_cvt_pk_bf8_f32 v49, v36, v36
	s_delay_alu instid0(VALU_DEP_1) | instskip(SKIP_2) | instid1(VALU_DEP_3)
	v_lshlrev_b32_e32 v36, 8, v49
	v_lshrrev_b32_e32 v49, 24, v37
	v_bfe_u32 v37, v37, 16, 8
	v_perm_b32 v36, v36, v48, 0xc0c0500
	v_bfe_u32 v48, v14, 8, 8
	s_delay_alu instid0(VALU_DEP_3) | instskip(NEXT) | instid1(VALU_DEP_2)
	v_cvt_f32_bf8_e32 v37, v37
	v_cvt_f32_bf8_e32 v48, v48
	s_delay_alu instid0(VALU_DEP_2) | instskip(NEXT) | instid1(VALU_DEP_1)
	v_mul_f32_e32 v13, v37, v13
	v_cmp_nlg_f32_e64 vcc_lo, 0x7f800000, |v13|
	v_med3_num_f32 v37, v13, s89, 0xc7600000
	s_wait_alu 0xfffd
	s_delay_alu instid0(VALU_DEP_1) | instskip(SKIP_1) | instid1(VALU_DEP_1)
	v_cndmask_b32_e32 v13, v37, v13, vcc_lo
	v_mov_b32_e32 v37, 0
	v_cvt_pk_bf8_f32 v37, v13, v13
	s_delay_alu instid0(VALU_DEP_1) | instskip(SKIP_2) | instid1(VALU_DEP_3)
	v_and_b32_e32 v13, 0xff, v37
	v_cvt_f32_bf8_e32 v37, v49
	v_cvt_f32_bf8_e32 v49, v50
	v_lshlrev_b32_e32 v13, 16, v13
	s_delay_alu instid0(VALU_DEP_2) | instskip(NEXT) | instid1(VALU_DEP_1)
	v_mul_f32_e32 v37, v37, v49
	v_cmp_nlg_f32_e64 vcc_lo, 0x7f800000, |v37|
	v_med3_num_f32 v49, v37, s89, 0xc7600000
	s_wait_alu 0xfffd
	s_delay_alu instid0(VALU_DEP_1) | instskip(SKIP_1) | instid1(VALU_DEP_1)
	v_cndmask_b32_e32 v37, v49, v37, vcc_lo
	v_mov_b32_e32 v49, 0
	v_cvt_pk_bf8_f32 v49, v37, v37
	s_delay_alu instid0(VALU_DEP_1) | instskip(SKIP_1) | instid1(VALU_DEP_2)
	v_lshlrev_b32_e32 v37, 24, v49
	v_lshrrev_b32_e32 v49, 24, v14
	v_or3_b32 v13, v37, v13, v36
	v_and_b32_e32 v36, 0xff, v38
	v_and_b32_e32 v37, 0xff, v14
	v_bfe_u32 v14, v14, 16, 8
	s_delay_alu instid0(VALU_DEP_3) | instskip(NEXT) | instid1(VALU_DEP_3)
	v_cvt_f32_bf8_e32 v36, v36
	v_cvt_f32_bf8_e32 v37, v37
	s_delay_alu instid0(VALU_DEP_3) | instskip(NEXT) | instid1(VALU_DEP_2)
	v_cvt_f32_bf8_e32 v14, v14
	v_mul_f32_e32 v36, v36, v37
	s_delay_alu instid0(VALU_DEP_1) | instskip(SKIP_2) | instid1(VALU_DEP_1)
	v_cmp_nlg_f32_e64 vcc_lo, 0x7f800000, |v36|
	v_med3_num_f32 v37, v36, s89, 0xc7600000
	s_wait_alu 0xfffd
	v_dual_cndmask_b32 v36, v37, v36 :: v_dual_mov_b32 v37, 0
	s_delay_alu instid0(VALU_DEP_1) | instskip(SKIP_1) | instid1(VALU_DEP_1)
	v_cvt_pk_bf8_f32 v37, v36, v36
	v_bfe_u32 v36, v38, 8, 8
	v_cvt_f32_bf8_e32 v36, v36
	s_delay_alu instid0(VALU_DEP_1) | instskip(NEXT) | instid1(VALU_DEP_1)
	v_mul_f32_e32 v36, v36, v48
	v_cmp_nlg_f32_e64 vcc_lo, 0x7f800000, |v36|
	v_med3_num_f32 v48, v36, s89, 0xc7600000
	s_wait_alu 0xfffd
	s_delay_alu instid0(VALU_DEP_1) | instskip(SKIP_1) | instid1(VALU_DEP_1)
	v_cndmask_b32_e32 v36, v48, v36, vcc_lo
	v_mov_b32_e32 v48, 0
	v_cvt_pk_bf8_f32 v48, v36, v36
	s_delay_alu instid0(VALU_DEP_1) | instskip(SKIP_2) | instid1(VALU_DEP_3)
	v_lshlrev_b32_e32 v36, 8, v48
	v_lshrrev_b32_e32 v48, 24, v38
	v_bfe_u32 v38, v38, 16, 8
	v_perm_b32 v36, v36, v37, 0xc0c0500
	v_and_b32_e32 v37, 0xff, v15
	s_delay_alu instid0(VALU_DEP_3) | instskip(NEXT) | instid1(VALU_DEP_2)
	v_cvt_f32_bf8_e32 v38, v38
	v_cvt_f32_bf8_e32 v37, v37
	s_delay_alu instid0(VALU_DEP_2) | instskip(NEXT) | instid1(VALU_DEP_1)
	v_mul_f32_e32 v14, v38, v14
	v_cmp_nlg_f32_e64 vcc_lo, 0x7f800000, |v14|
	v_med3_num_f32 v38, v14, s89, 0xc7600000
	s_wait_alu 0xfffd
	s_delay_alu instid0(VALU_DEP_1) | instskip(SKIP_1) | instid1(VALU_DEP_1)
	v_cndmask_b32_e32 v14, v38, v14, vcc_lo
	v_mov_b32_e32 v38, 0
	v_cvt_pk_bf8_f32 v38, v14, v14
	s_delay_alu instid0(VALU_DEP_1) | instskip(SKIP_2) | instid1(VALU_DEP_3)
	v_and_b32_e32 v14, 0xff, v38
	v_cvt_f32_bf8_e32 v38, v48
	v_cvt_f32_bf8_e32 v48, v49
	v_lshlrev_b32_e32 v14, 16, v14
	s_delay_alu instid0(VALU_DEP_2) | instskip(NEXT) | instid1(VALU_DEP_1)
	v_mul_f32_e32 v38, v38, v48
	v_cmp_nlg_f32_e64 vcc_lo, 0x7f800000, |v38|
	v_med3_num_f32 v48, v38, s89, 0xc7600000
	s_wait_alu 0xfffd
	s_delay_alu instid0(VALU_DEP_1) | instskip(SKIP_1) | instid1(VALU_DEP_1)
	v_cndmask_b32_e32 v38, v48, v38, vcc_lo
	v_mov_b32_e32 v48, 0
	v_cvt_pk_bf8_f32 v48, v38, v38
	s_delay_alu instid0(VALU_DEP_1) | instskip(SKIP_1) | instid1(VALU_DEP_2)
	v_lshlrev_b32_e32 v38, 24, v48
	v_lshrrev_b32_e32 v48, 24, v15
	v_or3_b32 v14, v38, v14, v36
	v_and_b32_e32 v36, 0xff, v39
	v_bfe_u32 v38, v15, 8, 8
	v_bfe_u32 v15, v15, 16, 8
	s_delay_alu instid0(VALU_DEP_3) | instskip(NEXT) | instid1(VALU_DEP_3)
	v_cvt_f32_bf8_e32 v36, v36
	v_cvt_f32_bf8_e32 v38, v38
	s_delay_alu instid0(VALU_DEP_3) | instskip(NEXT) | instid1(VALU_DEP_3)
	v_cvt_f32_bf8_e32 v15, v15
	v_mul_f32_e32 v36, v36, v37
	s_delay_alu instid0(VALU_DEP_1) | instskip(SKIP_2) | instid1(VALU_DEP_1)
	v_cmp_nlg_f32_e64 vcc_lo, 0x7f800000, |v36|
	v_med3_num_f32 v37, v36, s89, 0xc7600000
	s_wait_alu 0xfffd
	v_dual_cndmask_b32 v36, v37, v36 :: v_dual_mov_b32 v37, 0
	s_delay_alu instid0(VALU_DEP_1) | instskip(SKIP_1) | instid1(VALU_DEP_1)
	v_cvt_pk_bf8_f32 v37, v36, v36
	v_bfe_u32 v36, v39, 8, 8
	v_cvt_f32_bf8_e32 v36, v36
	s_delay_alu instid0(VALU_DEP_1) | instskip(NEXT) | instid1(VALU_DEP_1)
	v_mul_f32_e32 v36, v36, v38
	v_cmp_nlg_f32_e64 vcc_lo, 0x7f800000, |v36|
	v_med3_num_f32 v38, v36, s89, 0xc7600000
	s_wait_alu 0xfffd
	s_delay_alu instid0(VALU_DEP_1) | instskip(SKIP_1) | instid1(VALU_DEP_1)
	v_cndmask_b32_e32 v36, v38, v36, vcc_lo
	v_mov_b32_e32 v38, 0
	v_cvt_pk_bf8_f32 v38, v36, v36
	s_delay_alu instid0(VALU_DEP_1) | instskip(SKIP_2) | instid1(VALU_DEP_3)
	v_lshlrev_b32_e32 v36, 8, v38
	v_lshrrev_b32_e32 v38, 24, v39
	v_bfe_u32 v39, v39, 16, 8
	v_perm_b32 v36, v36, v37, 0xc0c0500
	s_delay_alu instid0(VALU_DEP_3) | instskip(NEXT) | instid1(VALU_DEP_3)
	v_cvt_f32_bf8_e32 v38, v38
	v_cvt_f32_bf8_e32 v39, v39
	s_wait_loadcnt 0x1
	v_and_b32_e32 v37, 0xff, v32
	s_delay_alu instid0(VALU_DEP_2) | instskip(NEXT) | instid1(VALU_DEP_2)
	v_mul_f32_e32 v15, v39, v15
	v_cvt_f32_bf8_e32 v37, v37
	s_delay_alu instid0(VALU_DEP_2) | instskip(SKIP_2) | instid1(VALU_DEP_1)
	v_cmp_nlg_f32_e64 vcc_lo, 0x7f800000, |v15|
	v_med3_num_f32 v39, v15, s89, 0xc7600000
	s_wait_alu 0xfffd
	v_cndmask_b32_e32 v15, v39, v15, vcc_lo
	v_mov_b32_e32 v39, 0
	s_delay_alu instid0(VALU_DEP_1) | instskip(NEXT) | instid1(VALU_DEP_1)
	v_cvt_pk_bf8_f32 v39, v15, v15
	v_and_b32_e32 v15, 0xff, v39
	v_cvt_f32_bf8_e32 v39, v48
	s_delay_alu instid0(VALU_DEP_2) | instskip(NEXT) | instid1(VALU_DEP_2)
	v_lshlrev_b32_e32 v15, 16, v15
	v_mul_f32_e32 v38, v38, v39
	s_delay_alu instid0(VALU_DEP_1) | instskip(SKIP_2) | instid1(VALU_DEP_1)
	v_cmp_nlg_f32_e64 vcc_lo, 0x7f800000, |v38|
	v_med3_num_f32 v39, v38, s89, 0xc7600000
	s_wait_alu 0xfffd
	v_dual_cndmask_b32 v38, v39, v38 :: v_dual_mov_b32 v39, 0
	s_delay_alu instid0(VALU_DEP_1) | instskip(NEXT) | instid1(VALU_DEP_1)
	v_cvt_pk_bf8_f32 v39, v38, v38
	v_lshlrev_b32_e32 v38, 24, v39
	v_lshrrev_b32_e32 v39, 24, v32
	s_delay_alu instid0(VALU_DEP_2) | instskip(SKIP_3) | instid1(VALU_DEP_3)
	v_or3_b32 v15, v38, v15, v36
	v_and_b32_e32 v36, 0xff, v16
	v_bfe_u32 v38, v32, 8, 8
	v_bfe_u32 v32, v32, 16, 8
	v_cvt_f32_bf8_e32 v36, v36
	s_delay_alu instid0(VALU_DEP_3) | instskip(NEXT) | instid1(VALU_DEP_3)
	v_cvt_f32_bf8_e32 v38, v38
	v_cvt_f32_bf8_e32 v32, v32
	s_delay_alu instid0(VALU_DEP_3) | instskip(NEXT) | instid1(VALU_DEP_1)
	v_mul_f32_e32 v36, v36, v37
	v_cmp_nlg_f32_e64 vcc_lo, 0x7f800000, |v36|
	v_med3_num_f32 v37, v36, s89, 0xc7600000
	s_wait_alu 0xfffd
	s_delay_alu instid0(VALU_DEP_1) | instskip(NEXT) | instid1(VALU_DEP_1)
	v_dual_cndmask_b32 v36, v37, v36 :: v_dual_mov_b32 v37, 0
	v_cvt_pk_bf8_f32 v37, v36, v36
	v_bfe_u32 v36, v16, 8, 8
	s_delay_alu instid0(VALU_DEP_1) | instskip(NEXT) | instid1(VALU_DEP_1)
	v_cvt_f32_bf8_e32 v36, v36
	v_mul_f32_e32 v36, v36, v38
	s_delay_alu instid0(VALU_DEP_1) | instskip(SKIP_2) | instid1(VALU_DEP_1)
	v_cmp_nlg_f32_e64 vcc_lo, 0x7f800000, |v36|
	v_med3_num_f32 v38, v36, s89, 0xc7600000
	s_wait_alu 0xfffd
	v_cndmask_b32_e32 v36, v38, v36, vcc_lo
	v_mov_b32_e32 v38, 0
	s_delay_alu instid0(VALU_DEP_1) | instskip(NEXT) | instid1(VALU_DEP_1)
	v_cvt_pk_bf8_f32 v38, v36, v36
	v_lshlrev_b32_e32 v36, 8, v38
	v_lshrrev_b32_e32 v38, 24, v16
	v_bfe_u32 v16, v16, 16, 8
	s_delay_alu instid0(VALU_DEP_3) | instskip(SKIP_1) | instid1(VALU_DEP_3)
	v_perm_b32 v36, v36, v37, 0xc0c0500
	v_bfe_u32 v37, v33, 8, 8
	v_cvt_f32_bf8_e32 v16, v16
	s_delay_alu instid0(VALU_DEP_2) | instskip(NEXT) | instid1(VALU_DEP_2)
	v_cvt_f32_bf8_e32 v37, v37
	v_mul_f32_e32 v16, v16, v32
	s_delay_alu instid0(VALU_DEP_1) | instskip(SKIP_2) | instid1(VALU_DEP_1)
	v_cmp_nlg_f32_e64 vcc_lo, 0x7f800000, |v16|
	v_med3_num_f32 v32, v16, s89, 0xc7600000
	s_wait_alu 0xfffd
	v_cndmask_b32_e32 v16, v32, v16, vcc_lo
	v_mov_b32_e32 v32, 0
	s_delay_alu instid0(VALU_DEP_1) | instskip(NEXT) | instid1(VALU_DEP_1)
	v_cvt_pk_bf8_f32 v32, v16, v16
	v_and_b32_e32 v16, 0xff, v32
	v_cvt_f32_bf8_e32 v32, v38
	v_cvt_f32_bf8_e32 v38, v39
	s_delay_alu instid0(VALU_DEP_3) | instskip(NEXT) | instid1(VALU_DEP_2)
	v_lshlrev_b32_e32 v16, 16, v16
	v_mul_f32_e32 v32, v32, v38
	s_delay_alu instid0(VALU_DEP_1) | instskip(SKIP_2) | instid1(VALU_DEP_1)
	v_cmp_nlg_f32_e64 vcc_lo, 0x7f800000, |v32|
	v_med3_num_f32 v38, v32, s89, 0xc7600000
	s_wait_alu 0xfffd
	v_cndmask_b32_e32 v32, v38, v32, vcc_lo
	v_mov_b32_e32 v38, 0
	s_delay_alu instid0(VALU_DEP_1) | instskip(NEXT) | instid1(VALU_DEP_1)
	v_cvt_pk_bf8_f32 v38, v32, v32
	v_lshlrev_b32_e32 v32, 24, v38
	v_lshrrev_b32_e32 v38, 24, v33
	s_delay_alu instid0(VALU_DEP_2) | instskip(SKIP_3) | instid1(VALU_DEP_3)
	v_or3_b32 v16, v32, v16, v36
	v_and_b32_e32 v32, 0xff, v17
	v_and_b32_e32 v36, 0xff, v33
	v_bfe_u32 v33, v33, 16, 8
	v_cvt_f32_bf8_e32 v32, v32
	s_delay_alu instid0(VALU_DEP_3) | instskip(NEXT) | instid1(VALU_DEP_3)
	v_cvt_f32_bf8_e32 v36, v36
	v_cvt_f32_bf8_e32 v33, v33
	s_delay_alu instid0(VALU_DEP_2) | instskip(NEXT) | instid1(VALU_DEP_1)
	v_mul_f32_e32 v32, v32, v36
	v_cmp_nlg_f32_e64 vcc_lo, 0x7f800000, |v32|
	v_med3_num_f32 v36, v32, s89, 0xc7600000
	s_wait_alu 0xfffd
	s_delay_alu instid0(VALU_DEP_1) | instskip(SKIP_1) | instid1(VALU_DEP_1)
	v_cndmask_b32_e32 v32, v36, v32, vcc_lo
	v_mov_b32_e32 v36, 0
	v_cvt_pk_bf8_f32 v36, v32, v32
	v_bfe_u32 v32, v17, 8, 8
	s_delay_alu instid0(VALU_DEP_1) | instskip(NEXT) | instid1(VALU_DEP_1)
	v_cvt_f32_bf8_e32 v32, v32
	v_mul_f32_e32 v32, v32, v37
	s_delay_alu instid0(VALU_DEP_1) | instskip(SKIP_2) | instid1(VALU_DEP_1)
	v_cmp_nlg_f32_e64 vcc_lo, 0x7f800000, |v32|
	v_med3_num_f32 v37, v32, s89, 0xc7600000
	s_wait_alu 0xfffd
	v_dual_cndmask_b32 v32, v37, v32 :: v_dual_mov_b32 v37, 0
	s_delay_alu instid0(VALU_DEP_1) | instskip(NEXT) | instid1(VALU_DEP_1)
	v_cvt_pk_bf8_f32 v37, v32, v32
	v_lshlrev_b32_e32 v32, 8, v37
	v_lshrrev_b32_e32 v37, 24, v17
	v_bfe_u32 v17, v17, 16, 8
	s_delay_alu instid0(VALU_DEP_3) | instskip(SKIP_1) | instid1(VALU_DEP_3)
	v_perm_b32 v32, v32, v36, 0xc0c0500
	v_bfe_u32 v36, v34, 8, 8
	v_cvt_f32_bf8_e32 v17, v17
	s_delay_alu instid0(VALU_DEP_2) | instskip(NEXT) | instid1(VALU_DEP_2)
	v_cvt_f32_bf8_e32 v36, v36
	v_mul_f32_e32 v17, v17, v33
	s_delay_alu instid0(VALU_DEP_1) | instskip(SKIP_2) | instid1(VALU_DEP_1)
	v_cmp_nlg_f32_e64 vcc_lo, 0x7f800000, |v17|
	v_med3_num_f32 v33, v17, s89, 0xc7600000
	s_wait_alu 0xfffd
	v_cndmask_b32_e32 v17, v33, v17, vcc_lo
	v_mov_b32_e32 v33, 0
	s_delay_alu instid0(VALU_DEP_1) | instskip(NEXT) | instid1(VALU_DEP_1)
	v_cvt_pk_bf8_f32 v33, v17, v17
	v_and_b32_e32 v17, 0xff, v33
	v_cvt_f32_bf8_e32 v33, v37
	v_cvt_f32_bf8_e32 v37, v38
	s_delay_alu instid0(VALU_DEP_3) | instskip(NEXT) | instid1(VALU_DEP_2)
	v_lshlrev_b32_e32 v17, 16, v17
	v_mul_f32_e32 v33, v33, v37
	s_delay_alu instid0(VALU_DEP_1) | instskip(SKIP_2) | instid1(VALU_DEP_1)
	v_cmp_nlg_f32_e64 vcc_lo, 0x7f800000, |v33|
	v_med3_num_f32 v37, v33, s89, 0xc7600000
	s_wait_alu 0xfffd
	v_cndmask_b32_e32 v33, v37, v33, vcc_lo
	v_mov_b32_e32 v37, 0
	s_delay_alu instid0(VALU_DEP_1) | instskip(NEXT) | instid1(VALU_DEP_1)
	v_cvt_pk_bf8_f32 v37, v33, v33
	v_lshlrev_b32_e32 v33, 24, v37
	v_lshrrev_b32_e32 v37, 24, v34
	s_delay_alu instid0(VALU_DEP_2) | instskip(SKIP_3) | instid1(VALU_DEP_3)
	v_or3_b32 v17, v33, v17, v32
	v_and_b32_e32 v32, 0xff, v18
	v_and_b32_e32 v33, 0xff, v34
	v_bfe_u32 v34, v34, 16, 8
	v_cvt_f32_bf8_e32 v32, v32
	s_delay_alu instid0(VALU_DEP_3) | instskip(NEXT) | instid1(VALU_DEP_3)
	v_cvt_f32_bf8_e32 v33, v33
	v_cvt_f32_bf8_e32 v34, v34
	s_delay_alu instid0(VALU_DEP_2) | instskip(NEXT) | instid1(VALU_DEP_1)
	v_mul_f32_e32 v32, v32, v33
	v_cmp_nlg_f32_e64 vcc_lo, 0x7f800000, |v32|
	v_med3_num_f32 v33, v32, s89, 0xc7600000
	s_wait_alu 0xfffd
	s_delay_alu instid0(VALU_DEP_1) | instskip(NEXT) | instid1(VALU_DEP_1)
	v_dual_cndmask_b32 v32, v33, v32 :: v_dual_mov_b32 v33, 0
	v_cvt_pk_bf8_f32 v33, v32, v32
	v_bfe_u32 v32, v18, 8, 8
	s_delay_alu instid0(VALU_DEP_1) | instskip(NEXT) | instid1(VALU_DEP_1)
	v_cvt_f32_bf8_e32 v32, v32
	v_mul_f32_e32 v32, v32, v36
	s_delay_alu instid0(VALU_DEP_1) | instskip(SKIP_2) | instid1(VALU_DEP_1)
	v_cmp_nlg_f32_e64 vcc_lo, 0x7f800000, |v32|
	v_med3_num_f32 v36, v32, s89, 0xc7600000
	s_wait_alu 0xfffd
	v_cndmask_b32_e32 v32, v36, v32, vcc_lo
	v_mov_b32_e32 v36, 0
	s_delay_alu instid0(VALU_DEP_1) | instskip(NEXT) | instid1(VALU_DEP_1)
	v_cvt_pk_bf8_f32 v36, v32, v32
	v_lshlrev_b32_e32 v32, 8, v36
	v_lshrrev_b32_e32 v36, 24, v18
	v_bfe_u32 v18, v18, 16, 8
	s_delay_alu instid0(VALU_DEP_3) | instskip(SKIP_1) | instid1(VALU_DEP_3)
	v_perm_b32 v32, v32, v33, 0xc0c0500
	v_and_b32_e32 v33, 0xff, v35
	v_cvt_f32_bf8_e32 v18, v18
	s_delay_alu instid0(VALU_DEP_2) | instskip(NEXT) | instid1(VALU_DEP_2)
	v_cvt_f32_bf8_e32 v33, v33
	v_mul_f32_e32 v18, v18, v34
	s_delay_alu instid0(VALU_DEP_1) | instskip(SKIP_2) | instid1(VALU_DEP_1)
	v_cmp_nlg_f32_e64 vcc_lo, 0x7f800000, |v18|
	v_med3_num_f32 v34, v18, s89, 0xc7600000
	s_wait_alu 0xfffd
	v_cndmask_b32_e32 v18, v34, v18, vcc_lo
	v_mov_b32_e32 v34, 0
	s_delay_alu instid0(VALU_DEP_1) | instskip(NEXT) | instid1(VALU_DEP_1)
	v_cvt_pk_bf8_f32 v34, v18, v18
	v_and_b32_e32 v18, 0xff, v34
	v_cvt_f32_bf8_e32 v34, v36
	v_cvt_f32_bf8_e32 v36, v37
	s_delay_alu instid0(VALU_DEP_3) | instskip(NEXT) | instid1(VALU_DEP_2)
	v_lshlrev_b32_e32 v18, 16, v18
	v_mul_f32_e32 v34, v34, v36
	s_delay_alu instid0(VALU_DEP_1) | instskip(SKIP_2) | instid1(VALU_DEP_1)
	v_cmp_nlg_f32_e64 vcc_lo, 0x7f800000, |v34|
	v_med3_num_f32 v36, v34, s89, 0xc7600000
	s_wait_alu 0xfffd
	v_cndmask_b32_e32 v34, v36, v34, vcc_lo
	v_mov_b32_e32 v36, 0
	s_delay_alu instid0(VALU_DEP_1) | instskip(NEXT) | instid1(VALU_DEP_1)
	v_cvt_pk_bf8_f32 v36, v34, v34
	v_lshlrev_b32_e32 v34, 24, v36
	v_lshrrev_b32_e32 v36, 24, v35
	s_delay_alu instid0(VALU_DEP_2) | instskip(SKIP_3) | instid1(VALU_DEP_3)
	v_or3_b32 v18, v34, v18, v32
	v_and_b32_e32 v32, 0xff, v19
	v_bfe_u32 v34, v35, 8, 8
	v_bfe_u32 v35, v35, 16, 8
	v_cvt_f32_bf8_e32 v32, v32
	s_delay_alu instid0(VALU_DEP_3) | instskip(NEXT) | instid1(VALU_DEP_3)
	v_cvt_f32_bf8_e32 v34, v34
	v_cvt_f32_bf8_e32 v35, v35
	s_delay_alu instid0(VALU_DEP_3) | instskip(NEXT) | instid1(VALU_DEP_1)
	v_mul_f32_e32 v32, v32, v33
	v_cmp_nlg_f32_e64 vcc_lo, 0x7f800000, |v32|
	v_med3_num_f32 v33, v32, s89, 0xc7600000
	s_wait_alu 0xfffd
	s_delay_alu instid0(VALU_DEP_1) | instskip(NEXT) | instid1(VALU_DEP_1)
	v_dual_cndmask_b32 v32, v33, v32 :: v_dual_mov_b32 v33, 0
	v_cvt_pk_bf8_f32 v33, v32, v32
	v_bfe_u32 v32, v19, 8, 8
	s_delay_alu instid0(VALU_DEP_1) | instskip(NEXT) | instid1(VALU_DEP_1)
	v_cvt_f32_bf8_e32 v32, v32
	v_mul_f32_e32 v32, v32, v34
	s_delay_alu instid0(VALU_DEP_1) | instskip(SKIP_2) | instid1(VALU_DEP_1)
	v_cmp_nlg_f32_e64 vcc_lo, 0x7f800000, |v32|
	v_med3_num_f32 v34, v32, s89, 0xc7600000
	s_wait_alu 0xfffd
	v_cndmask_b32_e32 v32, v34, v32, vcc_lo
	v_mov_b32_e32 v34, 0
	s_delay_alu instid0(VALU_DEP_1) | instskip(NEXT) | instid1(VALU_DEP_1)
	v_cvt_pk_bf8_f32 v34, v32, v32
	v_lshlrev_b32_e32 v32, 8, v34
	v_lshrrev_b32_e32 v34, 24, v19
	v_bfe_u32 v19, v19, 16, 8
	s_delay_alu instid0(VALU_DEP_3) | instskip(NEXT) | instid1(VALU_DEP_3)
	v_perm_b32 v32, v32, v33, 0xc0c0500
	v_cvt_f32_bf8_e32 v34, v34
	s_delay_alu instid0(VALU_DEP_3) | instskip(SKIP_2) | instid1(VALU_DEP_2)
	v_cvt_f32_bf8_e32 v19, v19
	s_wait_loadcnt 0x0
	v_and_b32_e32 v33, 0xff, v24
	v_mul_f32_e32 v19, v19, v35
	s_delay_alu instid0(VALU_DEP_2) | instskip(NEXT) | instid1(VALU_DEP_2)
	v_cvt_f32_bf8_e32 v33, v33
	v_cmp_nlg_f32_e64 vcc_lo, 0x7f800000, |v19|
	v_med3_num_f32 v35, v19, s89, 0xc7600000
	s_wait_alu 0xfffd
	s_delay_alu instid0(VALU_DEP_1) | instskip(SKIP_1) | instid1(VALU_DEP_1)
	v_cndmask_b32_e32 v19, v35, v19, vcc_lo
	v_mov_b32_e32 v35, 0
	v_cvt_pk_bf8_f32 v35, v19, v19
	s_delay_alu instid0(VALU_DEP_1) | instskip(SKIP_1) | instid1(VALU_DEP_2)
	v_and_b32_e32 v19, 0xff, v35
	v_cvt_f32_bf8_e32 v35, v36
	v_lshlrev_b32_e32 v19, 16, v19
	s_delay_alu instid0(VALU_DEP_2) | instskip(NEXT) | instid1(VALU_DEP_1)
	v_mul_f32_e32 v34, v34, v35
	v_cmp_nlg_f32_e64 vcc_lo, 0x7f800000, |v34|
	v_med3_num_f32 v35, v34, s89, 0xc7600000
	s_wait_alu 0xfffd
	s_delay_alu instid0(VALU_DEP_1) | instskip(NEXT) | instid1(VALU_DEP_1)
	v_dual_cndmask_b32 v34, v35, v34 :: v_dual_mov_b32 v35, 0
	v_cvt_pk_bf8_f32 v35, v34, v34
	s_delay_alu instid0(VALU_DEP_1) | instskip(SKIP_1) | instid1(VALU_DEP_2)
	v_lshlrev_b32_e32 v34, 24, v35
	v_lshrrev_b32_e32 v35, 24, v24
	v_or3_b32 v19, v34, v19, v32
	v_and_b32_e32 v32, 0xff, v20
	v_bfe_u32 v34, v24, 8, 8
	v_bfe_u32 v24, v24, 16, 8
	s_delay_alu instid0(VALU_DEP_3) | instskip(NEXT) | instid1(VALU_DEP_3)
	v_cvt_f32_bf8_e32 v32, v32
	v_cvt_f32_bf8_e32 v34, v34
	s_delay_alu instid0(VALU_DEP_3) | instskip(NEXT) | instid1(VALU_DEP_3)
	v_cvt_f32_bf8_e32 v24, v24
	v_mul_f32_e32 v32, v32, v33
	s_delay_alu instid0(VALU_DEP_1) | instskip(SKIP_2) | instid1(VALU_DEP_1)
	v_cmp_nlg_f32_e64 vcc_lo, 0x7f800000, |v32|
	v_med3_num_f32 v33, v32, s89, 0xc7600000
	s_wait_alu 0xfffd
	v_dual_cndmask_b32 v32, v33, v32 :: v_dual_mov_b32 v33, 0
	s_delay_alu instid0(VALU_DEP_1) | instskip(SKIP_1) | instid1(VALU_DEP_1)
	v_cvt_pk_bf8_f32 v33, v32, v32
	v_bfe_u32 v32, v20, 8, 8
	v_cvt_f32_bf8_e32 v32, v32
	s_delay_alu instid0(VALU_DEP_1) | instskip(NEXT) | instid1(VALU_DEP_1)
	v_mul_f32_e32 v32, v32, v34
	v_cmp_nlg_f32_e64 vcc_lo, 0x7f800000, |v32|
	v_med3_num_f32 v34, v32, s89, 0xc7600000
	s_wait_alu 0xfffd
	s_delay_alu instid0(VALU_DEP_1) | instskip(SKIP_1) | instid1(VALU_DEP_1)
	v_cndmask_b32_e32 v32, v34, v32, vcc_lo
	v_mov_b32_e32 v34, 0
	v_cvt_pk_bf8_f32 v34, v32, v32
	s_delay_alu instid0(VALU_DEP_1) | instskip(SKIP_2) | instid1(VALU_DEP_3)
	v_lshlrev_b32_e32 v32, 8, v34
	v_lshrrev_b32_e32 v34, 24, v20
	v_bfe_u32 v20, v20, 16, 8
	v_perm_b32 v32, v32, v33, 0xc0c0500
	v_bfe_u32 v33, v25, 8, 8
	s_delay_alu instid0(VALU_DEP_3) | instskip(NEXT) | instid1(VALU_DEP_2)
	v_cvt_f32_bf8_e32 v20, v20
	v_cvt_f32_bf8_e32 v33, v33
	s_delay_alu instid0(VALU_DEP_2) | instskip(NEXT) | instid1(VALU_DEP_1)
	v_mul_f32_e32 v20, v20, v24
	v_cmp_nlg_f32_e64 vcc_lo, 0x7f800000, |v20|
	v_med3_num_f32 v24, v20, s89, 0xc7600000
	s_wait_alu 0xfffd
	s_delay_alu instid0(VALU_DEP_1) | instskip(SKIP_1) | instid1(VALU_DEP_1)
	v_cndmask_b32_e32 v20, v24, v20, vcc_lo
	v_mov_b32_e32 v24, 0
	v_cvt_pk_bf8_f32 v24, v20, v20
	s_delay_alu instid0(VALU_DEP_1) | instskip(SKIP_2) | instid1(VALU_DEP_3)
	v_and_b32_e32 v20, 0xff, v24
	v_cvt_f32_bf8_e32 v24, v34
	v_cvt_f32_bf8_e32 v34, v35
	v_lshlrev_b32_e32 v20, 16, v20
	s_delay_alu instid0(VALU_DEP_2) | instskip(NEXT) | instid1(VALU_DEP_1)
	v_mul_f32_e32 v24, v24, v34
	v_cmp_nlg_f32_e64 vcc_lo, 0x7f800000, |v24|
	v_med3_num_f32 v34, v24, s89, 0xc7600000
	s_wait_alu 0xfffd
	s_delay_alu instid0(VALU_DEP_1) | instskip(SKIP_1) | instid1(VALU_DEP_1)
	v_cndmask_b32_e32 v24, v34, v24, vcc_lo
	v_mov_b32_e32 v34, 0
	v_cvt_pk_bf8_f32 v34, v24, v24
	s_delay_alu instid0(VALU_DEP_1) | instskip(SKIP_1) | instid1(VALU_DEP_2)
	v_lshlrev_b32_e32 v24, 24, v34
	v_lshrrev_b32_e32 v34, 24, v25
	v_or3_b32 v20, v24, v20, v32
	v_and_b32_e32 v24, 0xff, v21
	v_and_b32_e32 v32, 0xff, v25
	v_bfe_u32 v25, v25, 16, 8
	s_delay_alu instid0(VALU_DEP_3) | instskip(NEXT) | instid1(VALU_DEP_3)
	v_cvt_f32_bf8_e32 v24, v24
	v_cvt_f32_bf8_e32 v32, v32
	s_delay_alu instid0(VALU_DEP_3) | instskip(NEXT) | instid1(VALU_DEP_2)
	v_cvt_f32_bf8_e32 v25, v25
	v_mul_f32_e32 v24, v24, v32
	s_delay_alu instid0(VALU_DEP_1) | instskip(SKIP_2) | instid1(VALU_DEP_1)
	v_cmp_nlg_f32_e64 vcc_lo, 0x7f800000, |v24|
	v_med3_num_f32 v32, v24, s89, 0xc7600000
	s_wait_alu 0xfffd
	v_cndmask_b32_e32 v24, v32, v24, vcc_lo
	v_mov_b32_e32 v32, 0
	s_delay_alu instid0(VALU_DEP_1) | instskip(SKIP_1) | instid1(VALU_DEP_1)
	v_cvt_pk_bf8_f32 v32, v24, v24
	v_bfe_u32 v24, v21, 8, 8
	v_cvt_f32_bf8_e32 v24, v24
	s_delay_alu instid0(VALU_DEP_1) | instskip(NEXT) | instid1(VALU_DEP_1)
	v_mul_f32_e32 v24, v24, v33
	v_cmp_nlg_f32_e64 vcc_lo, 0x7f800000, |v24|
	v_med3_num_f32 v33, v24, s89, 0xc7600000
	s_wait_alu 0xfffd
	s_delay_alu instid0(VALU_DEP_1) | instskip(NEXT) | instid1(VALU_DEP_1)
	v_dual_cndmask_b32 v24, v33, v24 :: v_dual_mov_b32 v33, 0
	v_cvt_pk_bf8_f32 v33, v24, v24
	s_delay_alu instid0(VALU_DEP_1) | instskip(SKIP_2) | instid1(VALU_DEP_3)
	v_lshlrev_b32_e32 v24, 8, v33
	v_lshrrev_b32_e32 v33, 24, v21
	v_bfe_u32 v21, v21, 16, 8
	v_perm_b32 v24, v24, v32, 0xc0c0500
	v_bfe_u32 v32, v26, 8, 8
	s_delay_alu instid0(VALU_DEP_3) | instskip(NEXT) | instid1(VALU_DEP_2)
	v_cvt_f32_bf8_e32 v21, v21
	v_cvt_f32_bf8_e32 v32, v32
	s_delay_alu instid0(VALU_DEP_2) | instskip(NEXT) | instid1(VALU_DEP_1)
	v_mul_f32_e32 v21, v21, v25
	v_cmp_nlg_f32_e64 vcc_lo, 0x7f800000, |v21|
	v_med3_num_f32 v25, v21, s89, 0xc7600000
	s_wait_alu 0xfffd
	s_delay_alu instid0(VALU_DEP_1) | instskip(SKIP_1) | instid1(VALU_DEP_1)
	v_cndmask_b32_e32 v21, v25, v21, vcc_lo
	v_mov_b32_e32 v25, 0
	v_cvt_pk_bf8_f32 v25, v21, v21
	s_delay_alu instid0(VALU_DEP_1) | instskip(SKIP_2) | instid1(VALU_DEP_3)
	v_and_b32_e32 v21, 0xff, v25
	v_cvt_f32_bf8_e32 v25, v33
	v_cvt_f32_bf8_e32 v33, v34
	v_lshlrev_b32_e32 v21, 16, v21
	s_delay_alu instid0(VALU_DEP_2) | instskip(NEXT) | instid1(VALU_DEP_1)
	v_mul_f32_e32 v25, v25, v33
	v_cmp_nlg_f32_e64 vcc_lo, 0x7f800000, |v25|
	v_med3_num_f32 v33, v25, s89, 0xc7600000
	s_wait_alu 0xfffd
	s_delay_alu instid0(VALU_DEP_1) | instskip(SKIP_1) | instid1(VALU_DEP_1)
	v_cndmask_b32_e32 v25, v33, v25, vcc_lo
	v_mov_b32_e32 v33, 0
	v_cvt_pk_bf8_f32 v33, v25, v25
	s_delay_alu instid0(VALU_DEP_1) | instskip(SKIP_1) | instid1(VALU_DEP_2)
	v_lshlrev_b32_e32 v25, 24, v33
	v_lshrrev_b32_e32 v33, 24, v26
	v_or3_b32 v21, v25, v21, v24
	v_and_b32_e32 v24, 0xff, v22
	v_and_b32_e32 v25, 0xff, v26
	v_bfe_u32 v26, v26, 16, 8
	s_delay_alu instid0(VALU_DEP_3) | instskip(NEXT) | instid1(VALU_DEP_3)
	v_cvt_f32_bf8_e32 v24, v24
	v_cvt_f32_bf8_e32 v25, v25
	s_delay_alu instid0(VALU_DEP_3) | instskip(NEXT) | instid1(VALU_DEP_2)
	v_cvt_f32_bf8_e32 v26, v26
	v_mul_f32_e32 v24, v24, v25
	s_delay_alu instid0(VALU_DEP_1) | instskip(SKIP_2) | instid1(VALU_DEP_1)
	v_cmp_nlg_f32_e64 vcc_lo, 0x7f800000, |v24|
	v_med3_num_f32 v25, v24, s89, 0xc7600000
	s_wait_alu 0xfffd
	v_dual_cndmask_b32 v24, v25, v24 :: v_dual_mov_b32 v25, 0
	s_delay_alu instid0(VALU_DEP_1) | instskip(SKIP_1) | instid1(VALU_DEP_1)
	v_cvt_pk_bf8_f32 v25, v24, v24
	v_bfe_u32 v24, v22, 8, 8
	v_cvt_f32_bf8_e32 v24, v24
	s_delay_alu instid0(VALU_DEP_1) | instskip(NEXT) | instid1(VALU_DEP_1)
	v_mul_f32_e32 v24, v24, v32
	v_cmp_nlg_f32_e64 vcc_lo, 0x7f800000, |v24|
	v_med3_num_f32 v32, v24, s89, 0xc7600000
	s_wait_alu 0xfffd
	s_delay_alu instid0(VALU_DEP_1) | instskip(SKIP_1) | instid1(VALU_DEP_1)
	v_cndmask_b32_e32 v24, v32, v24, vcc_lo
	v_mov_b32_e32 v32, 0
	v_cvt_pk_bf8_f32 v32, v24, v24
	s_delay_alu instid0(VALU_DEP_1) | instskip(SKIP_2) | instid1(VALU_DEP_3)
	v_lshlrev_b32_e32 v24, 8, v32
	v_lshrrev_b32_e32 v32, 24, v22
	v_bfe_u32 v22, v22, 16, 8
	v_perm_b32 v24, v24, v25, 0xc0c0500
	v_and_b32_e32 v25, 0xff, v27
	s_delay_alu instid0(VALU_DEP_3) | instskip(NEXT) | instid1(VALU_DEP_2)
	v_cvt_f32_bf8_e32 v22, v22
	v_cvt_f32_bf8_e32 v25, v25
	s_delay_alu instid0(VALU_DEP_2) | instskip(NEXT) | instid1(VALU_DEP_1)
	v_mul_f32_e32 v22, v22, v26
	v_cmp_nlg_f32_e64 vcc_lo, 0x7f800000, |v22|
	v_med3_num_f32 v26, v22, s89, 0xc7600000
	s_wait_alu 0xfffd
	s_delay_alu instid0(VALU_DEP_1) | instskip(SKIP_1) | instid1(VALU_DEP_1)
	v_cndmask_b32_e32 v22, v26, v22, vcc_lo
	v_mov_b32_e32 v26, 0
	v_cvt_pk_bf8_f32 v26, v22, v22
	s_delay_alu instid0(VALU_DEP_1) | instskip(SKIP_2) | instid1(VALU_DEP_3)
	v_and_b32_e32 v22, 0xff, v26
	v_cvt_f32_bf8_e32 v26, v32
	v_cvt_f32_bf8_e32 v32, v33
	v_lshlrev_b32_e32 v22, 16, v22
	s_delay_alu instid0(VALU_DEP_2) | instskip(NEXT) | instid1(VALU_DEP_1)
	v_mul_f32_e32 v26, v26, v32
	v_cmp_nlg_f32_e64 vcc_lo, 0x7f800000, |v26|
	v_med3_num_f32 v32, v26, s89, 0xc7600000
	s_wait_alu 0xfffd
	s_delay_alu instid0(VALU_DEP_1) | instskip(SKIP_1) | instid1(VALU_DEP_1)
	v_cndmask_b32_e32 v26, v32, v26, vcc_lo
	v_mov_b32_e32 v32, 0
	v_cvt_pk_bf8_f32 v32, v26, v26
	s_delay_alu instid0(VALU_DEP_1) | instskip(SKIP_1) | instid1(VALU_DEP_2)
	v_lshlrev_b32_e32 v26, 24, v32
	v_lshrrev_b32_e32 v32, 24, v27
	v_or3_b32 v22, v26, v22, v24
	v_and_b32_e32 v24, 0xff, v23
	v_bfe_u32 v26, v27, 8, 8
	v_bfe_u32 v27, v27, 16, 8
	s_delay_alu instid0(VALU_DEP_3) | instskip(NEXT) | instid1(VALU_DEP_3)
	v_cvt_f32_bf8_e32 v24, v24
	v_cvt_f32_bf8_e32 v26, v26
	s_delay_alu instid0(VALU_DEP_3) | instskip(NEXT) | instid1(VALU_DEP_3)
	v_cvt_f32_bf8_e32 v27, v27
	v_mul_f32_e32 v24, v24, v25
	s_delay_alu instid0(VALU_DEP_1) | instskip(SKIP_2) | instid1(VALU_DEP_1)
	v_cmp_nlg_f32_e64 vcc_lo, 0x7f800000, |v24|
	v_med3_num_f32 v25, v24, s89, 0xc7600000
	s_wait_alu 0xfffd
	v_dual_cndmask_b32 v24, v25, v24 :: v_dual_mov_b32 v25, 0
	s_delay_alu instid0(VALU_DEP_1) | instskip(SKIP_1) | instid1(VALU_DEP_1)
	v_cvt_pk_bf8_f32 v25, v24, v24
	v_bfe_u32 v24, v23, 8, 8
	v_cvt_f32_bf8_e32 v24, v24
	s_delay_alu instid0(VALU_DEP_1) | instskip(NEXT) | instid1(VALU_DEP_1)
	v_mul_f32_e32 v24, v24, v26
	v_cmp_nlg_f32_e64 vcc_lo, 0x7f800000, |v24|
	v_med3_num_f32 v26, v24, s89, 0xc7600000
	s_wait_alu 0xfffd
	s_delay_alu instid0(VALU_DEP_1) | instskip(SKIP_1) | instid1(VALU_DEP_1)
	v_cndmask_b32_e32 v24, v26, v24, vcc_lo
	v_mov_b32_e32 v26, 0
	v_cvt_pk_bf8_f32 v26, v24, v24
	s_delay_alu instid0(VALU_DEP_1) | instskip(SKIP_2) | instid1(VALU_DEP_3)
	v_lshlrev_b32_e32 v24, 8, v26
	v_lshrrev_b32_e32 v26, 24, v23
	v_bfe_u32 v23, v23, 16, 8
	v_perm_b32 v24, v24, v25, 0xc0c0500
	s_delay_alu instid0(VALU_DEP_3) | instskip(NEXT) | instid1(VALU_DEP_3)
	v_cvt_f32_bf8_e32 v26, v26
	v_cvt_f32_bf8_e32 v23, v23
	s_delay_alu instid0(VALU_DEP_1) | instskip(NEXT) | instid1(VALU_DEP_1)
	v_mul_f32_e32 v23, v23, v27
	v_cmp_nlg_f32_e64 vcc_lo, 0x7f800000, |v23|
	v_med3_num_f32 v27, v23, s89, 0xc7600000
	s_wait_alu 0xfffd
	s_delay_alu instid0(VALU_DEP_1) | instskip(SKIP_1) | instid1(VALU_DEP_1)
	v_cndmask_b32_e32 v23, v27, v23, vcc_lo
	v_mov_b32_e32 v27, 0
	v_cvt_pk_bf8_f32 v27, v23, v23
	s_delay_alu instid0(VALU_DEP_1) | instskip(SKIP_1) | instid1(VALU_DEP_2)
	v_and_b32_e32 v23, 0xff, v27
	v_cvt_f32_bf8_e32 v27, v32
	v_lshlrev_b32_e32 v23, 16, v23
	s_delay_alu instid0(VALU_DEP_2) | instskip(NEXT) | instid1(VALU_DEP_1)
	v_mul_f32_e32 v26, v26, v27
	v_cmp_nlg_f32_e64 vcc_lo, 0x7f800000, |v26|
	v_med3_num_f32 v27, v26, s89, 0xc7600000
	s_wait_alu 0xfffd
	s_delay_alu instid0(VALU_DEP_1) | instskip(SKIP_3) | instid1(VALU_DEP_3)
	v_dual_cndmask_b32 v26, v27, v26 :: v_dual_mov_b32 v27, 0
	v_add_co_u32 v116, vcc_lo, v116, v151
	s_wait_alu 0xfffd
	v_add_co_ci_u32_e64 v117, null, 0, v117, vcc_lo
	v_cvt_pk_bf8_f32 v27, v26, v26
	v_add_co_u32 v118, vcc_lo, v118, v151
	s_wait_alu 0xfffd
	v_add_co_ci_u32_e64 v119, null, 0, v119, vcc_lo
	s_delay_alu instid0(VALU_DEP_3) | instskip(NEXT) | instid1(VALU_DEP_1)
	v_lshlrev_b32_e32 v26, 24, v27
	v_or3_b32 v23, v26, v23, v24
	s_clause 0x3
	global_store_b128 v[128:129], v[8:11], off th:TH_STORE_NT
	global_store_b128 v[128:129], v[12:15], off offset:512 th:TH_STORE_NT
	global_store_b128 v[128:129], v[16:19], off offset:1024 th:TH_STORE_NT
	;; [unrolled: 1-line block ×3, first 2 shown]
	v_add_co_u32 v128, vcc_lo, v128, v151
	s_wait_alu 0xfffd
	v_add_co_ci_u32_e64 v129, null, 0, v129, vcc_lo
	v_cmp_gt_i32_e32 vcc_lo, 1, v101
	s_wait_alu 0xfffe
	s_or_b32 s14, vcc_lo, s14
	s_wait_alu 0xfffe
	s_and_not1_b32 exec_lo, exec_lo, s14
	s_cbranch_execnz .LBB6_355
; %bb.356:                              ;   in Loop: Header=BB6_274 Depth=3
	s_or_b32 exec_lo, exec_lo, s14
.LBB6_357:                              ;   in Loop: Header=BB6_274 Depth=3
	s_wait_alu 0xfffe
	s_or_b32 exec_lo, exec_lo, s13
	v_dual_mov_b32 v14, 0 :: v_dual_lshlrev_b32 v17, 11, v40
	s_mov_b32 s13, 0
	s_mov_b32 s40, exec_lo
                                        ; implicit-def: $vgpr15
                                        ; implicit-def: $vgpr16
                                        ; implicit-def: $vgpr8
	s_delay_alu instid0(VALU_DEP_1)
	v_cmpx_ne_u32_e64 v3, v17
	s_cbranch_execz .LBB6_365
; %bb.358:                              ;   in Loop: Header=BB6_274 Depth=3
	v_lshlrev_b32_e32 v8, 5, v101
	v_sub_nc_u32_e32 v10, v3, v17
	s_mov_b32 s41, exec_lo
	s_delay_alu instid0(VALU_DEP_2) | instskip(NEXT) | instid1(VALU_DEP_2)
	v_sub_nc_u32_e32 v8, v165, v8
	v_ashrrev_i32_e32 v11, 31, v10
	s_delay_alu instid0(VALU_DEP_2) | instskip(NEXT) | instid1(VALU_DEP_2)
	v_ashrrev_i32_e32 v9, 31, v8
	v_lshrrev_b32_e32 v11, 23, v11
	s_delay_alu instid0(VALU_DEP_2) | instskip(NEXT) | instid1(VALU_DEP_2)
	v_lshrrev_b32_e32 v9, 27, v9
	v_add_nc_u32_e32 v11, v10, v11
	s_delay_alu instid0(VALU_DEP_2) | instskip(NEXT) | instid1(VALU_DEP_2)
	v_add_nc_u32_e32 v9, v8, v9
	v_and_b32_e32 v18, 0xfffffe00, v11
	v_ashrrev_i32_e32 v11, 9, v11
	s_delay_alu instid0(VALU_DEP_3) | instskip(NEXT) | instid1(VALU_DEP_3)
	v_and_b32_e32 v12, 0xffffffe0, v9
	v_sub_nc_u32_e32 v20, v10, v18
	v_ashrrev_i32_e32 v9, 5, v9
	s_delay_alu instid0(VALU_DEP_3) | instskip(NEXT) | instid1(VALU_DEP_3)
	v_sub_nc_u32_e32 v19, v8, v12
	v_cmp_lt_i32_e32 vcc_lo, 15, v20
	s_delay_alu instid0(VALU_DEP_2) | instskip(SKIP_2) | instid1(VALU_DEP_2)
	v_lshlrev_b32_e32 v8, 4, v19
	s_wait_alu 0xfffd
	v_add_co_ci_u32_e64 v11, null, 0, v11, vcc_lo
	v_lshl_add_u32 v8, v9, 9, v8
	s_delay_alu instid0(VALU_DEP_2) | instskip(NEXT) | instid1(VALU_DEP_2)
	v_sub_nc_u32_e32 v21, v11, v9
	v_sub_nc_u32_e32 v14, v10, v8
	s_delay_alu instid0(VALU_DEP_1)
	v_cmpx_lt_i32_e32 15, v14
	s_cbranch_execz .LBB6_362
; %bb.359:                              ;   in Loop: Header=BB6_274 Depth=3
	s_trap 2
	ds_load_b64 v[10:11], v0
	v_add_nc_u32_e32 v12, v8, v17
	s_mov_b32 s42, 0
	s_delay_alu instid0(VALU_DEP_1) | instskip(SKIP_2) | instid1(VALU_DEP_2)
	v_ashrrev_i32_e32 v13, 31, v12
	v_add_co_u32 v8, s13, v12, v112
	s_wait_alu 0xf1fe
	v_add_co_ci_u32_e64 v9, null, v13, v113, s13
	s_wait_dscnt 0x0
	v_add_co_u32 v10, s13, v10, v12
	s_wait_alu 0xf1ff
	v_add_co_ci_u32_e64 v11, null, v11, v13, s13
	v_add_co_u32 v12, s13, v12, v114
	s_wait_alu 0xf1ff
	v_add_co_ci_u32_e64 v13, null, v13, v115, s13
.LBB6_360:                              ;   Parent Loop BB6_47 Depth=1
                                        ;     Parent Loop BB6_271 Depth=2
                                        ;       Parent Loop BB6_274 Depth=3
                                        ; =>      This Inner Loop Header: Depth=4
	global_load_b128 v[22:25], v[10:11], off th:TH_LOAD_NT
	global_load_b128 v[32:35], v[8:9], off th:TH_LOAD_NT
	v_dual_mov_b32 v15, 0 :: v_dual_mov_b32 v16, 0
	v_dual_mov_b32 v26, 0 :: v_dual_mov_b32 v27, 0
	;; [unrolled: 1-line block ×8, first 2 shown]
	v_sub_nc_u32_e32 v14, v14, v149
	v_add_co_u32 v8, s13, v8, v149
	s_wait_alu 0xf1ff
	v_add_co_ci_u32_e64 v9, null, 0, v9, s13
	v_add_co_u32 v10, s13, v10, v149
	s_wait_alu 0xf1ff
	v_add_co_ci_u32_e64 v11, null, 0, v11, s13
	v_cmp_gt_i32_e64 s13, 16, v14
	v_sub_nc_u32_e32 v21, v21, v135
	s_or_b32 s42, s13, s42
	s_wait_loadcnt 0x1
	v_lshrrev_b32_e32 v129, 24, v22
	s_wait_loadcnt 0x0
	v_lshrrev_b32_e32 v59, 24, v32
	v_bfe_u32 v58, v32, 8, 8
	v_bfe_u32 v128, v22, 8, 8
	v_lshrrev_b32_e32 v42, 24, v23
	v_cvt_f32_bf8_e32 v129, v129
	v_cvt_f32_bf8_e32 v59, v59
	v_and_b32_e32 v57, 0xff, v32
	v_bfe_u32 v32, v32, 16, 8
	v_lshrrev_b32_e32 v62, 24, v33
	v_bfe_u32 v41, v23, 8, 8
	v_bfe_u32 v61, v33, 8, 8
	v_cvt_f32_bf8_e32 v42, v42
	v_cvt_f32_bf8_e32 v32, v32
	v_and_b32_e32 v119, 0xff, v22
	v_bfe_u32 v22, v22, 16, 8
	v_cvt_f32_bf8_e32 v62, v62
	v_and_b32_e32 v60, 0xff, v33
	v_bfe_u32 v33, v33, 16, 8
	v_bfe_u32 v44, v24, 8, 8
	v_cvt_f32_bf8_e32 v22, v22
	v_lshrrev_b32_e32 v45, 24, v24
	v_bfe_u32 v47, v25, 8, 8
	v_cvt_f32_bf8_e32 v33, v33
	v_lshrrev_b32_e32 v56, 24, v25
	v_mul_f32_e32 v22, v22, v32
	v_cvt_f32_bf8_e32 v119, v119
	v_mul_f32_e32 v32, v129, v59
	v_cvt_f32_bf8_e32 v57, v57
	v_and_b32_e32 v40, 0xff, v23
	v_bfe_u32 v23, v23, 16, 8
	v_bfe_u32 v72, v34, 8, 8
	v_lshrrev_b32_e32 v73, 24, v34
	v_bfe_u32 v75, v35, 8, 8
	v_lshrrev_b32_e32 v76, 24, v35
	v_cvt_f32_bf8_e32 v23, v23
	v_and_b32_e32 v74, 0xff, v35
	v_bfe_u32 v35, v35, 16, 8
	v_cvt_f32_bf8_e32 v128, v128
	v_cvt_f32_bf8_e32 v41, v41
	;; [unrolled: 1-line block ×3, first 2 shown]
	v_and_b32_e32 v43, 0xff, v24
	v_bfe_u32 v24, v24, 16, 8
	v_cvt_f32_bf8_e32 v61, v61
	v_and_b32_e32 v63, 0xff, v34
	v_bfe_u32 v34, v34, 16, 8
	v_mul_f32_e32 v119, v119, v57
	v_cvt_f32_bf8_e32 v40, v40
	v_mul_f32_e32 v23, v23, v33
	v_mul_f32_e32 v33, v42, v62
	v_cvt_f32_bf8_e32 v60, v60
	v_and_b32_e32 v46, 0xff, v25
	v_bfe_u32 v25, v25, 16, 8
	v_cvt_f32_bf8_e32 v44, v44
	v_cvt_f32_bf8_e32 v24, v24
	;; [unrolled: 1-line block ×8, first 2 shown]
	v_mul_f32_e32 v128, v128, v58
	v_cvt_f32_bf8_e32 v43, v43
	v_dual_mul_f32 v129, v40, v60 :: v_dual_mul_f32 v40, v41, v61
	v_cvt_f32_bf8_e32 v63, v63
	v_cvt_f32_bf8_e32 v45, v45
	;; [unrolled: 1-line block ×7, first 2 shown]
	v_dual_mul_f32 v41, v43, v63 :: v_dual_mul_f32 v42, v44, v72
	v_dual_mul_f32 v24, v24, v34 :: v_dual_mul_f32 v25, v25, v35
	s_delay_alu instid0(VALU_DEP_3)
	v_dual_mul_f32 v44, v47, v75 :: v_dual_mul_f32 v35, v56, v76
	v_dual_mul_f32 v34, v45, v73 :: v_dual_mul_f32 v43, v46, v74
	v_med3_num_f32 v46, v128, s89, 0xc7600000
	v_cmp_nlg_f32_e64 s14, 0x7f800000, |v128|
	v_med3_num_f32 v47, v22, s89, 0xc7600000
	v_cmp_nlg_f32_e64 s15, 0x7f800000, |v22|
	;; [unrolled: 2-line block ×9, first 2 shown]
	v_med3_num_f32 v45, v119, s89, 0xc7600000
	v_med3_num_f32 v57, v129, s89, 0xc7600000
	v_cmp_nlg_f32_e64 s17, 0x7f800000, |v129|
	v_med3_num_f32 v60, v33, s89, 0xc7600000
	v_cmp_nlg_f32_e64 s20, 0x7f800000, |v33|
	;; [unrolled: 2-line block ×6, first 2 shown]
	v_cmp_nlg_f32_e64 s29, 0x7f800000, |v119|
	s_wait_alu 0xf1ff
	v_cndmask_b32_e64 v128, v46, v128, s14
	v_cndmask_b32_e64 v22, v47, v22, s15
	;; [unrolled: 1-line block ×16, first 2 shown]
	v_cvt_pk_bf8_f32 v16, v128, v128
	v_cvt_pk_bf8_f32 v26, v22, v22
	;; [unrolled: 1-line block ×16, first 2 shown]
	v_lshlrev_b32_e32 v16, 8, v16
	v_and_b32_e32 v22, 0xff, v26
	v_lshlrev_b32_e32 v23, 24, v27
	v_lshlrev_b32_e32 v24, 8, v37
	v_and_b32_e32 v25, 0xff, v38
	v_lshlrev_b32_e32 v27, 8, v49
	v_and_b32_e32 v32, 0xff, v50
	;; [unrolled: 2-line block ×3, first 2 shown]
	v_lshlrev_b32_e32 v26, 24, v39
	v_lshlrev_b32_e32 v33, 24, v51
	;; [unrolled: 1-line block ×4, first 2 shown]
	v_perm_b32 v15, v16, v15, 0xc0c0500
	v_lshlrev_b32_e32 v16, 16, v25
	v_perm_b32 v24, v24, v36, 0xc0c0500
	v_lshlrev_b32_e32 v25, 16, v32
	;; [unrolled: 2-line block ×3, first 2 shown]
	v_perm_b32 v34, v34, v101, 0xc0c0500
	v_or3_b32 v22, v23, v22, v15
	v_or3_b32 v23, v26, v16, v24
	;; [unrolled: 1-line block ×3, first 2 shown]
	s_delay_alu instid0(VALU_DEP_4)
	v_or3_b32 v25, v37, v32, v34
	global_store_b128 v[12:13], v[22:25], off th:TH_STORE_NT
	v_add_co_u32 v12, s14, v12, v149
	s_wait_alu 0xf1ff
	v_add_co_ci_u32_e64 v13, null, 0, v13, s14
	s_wait_alu 0xfffe
	s_and_not1_b32 exec_lo, exec_lo, s42
	s_cbranch_execnz .LBB6_360
; %bb.361:                              ;   in Loop: Header=BB6_274 Depth=3
	s_or_b32 exec_lo, exec_lo, s42
.LBB6_362:                              ;   in Loop: Header=BB6_274 Depth=3
	s_wait_alu 0xfffe
	s_or_b32 exec_lo, exec_lo, s41
	v_dual_mov_b32 v14, 0 :: v_dual_and_b32 v9, 15, v3
	s_mov_b32 s14, 0
	s_mov_b32 s15, exec_lo
                                        ; implicit-def: $vgpr16
                                        ; implicit-def: $vgpr8
	s_delay_alu instid0(VALU_DEP_1) | instskip(NEXT) | instid1(VALU_DEP_1)
	v_cndmask_b32_e32 v15, v20, v9, vcc_lo
	v_cmpx_ne_u32_e32 0, v15
	s_cbranch_execz .LBB6_364
; %bb.363:                              ;   in Loop: Header=BB6_274 Depth=3
	v_cmp_lt_i32_e64 s13, 0, v21
	v_sub_nc_u32_e32 v9, v20, v9
	s_mov_b32 s14, exec_lo
	s_wait_alu 0xf1ff
	v_cndmask_b32_e64 v8, 0, v135, s13
	s_delay_alu instid0(VALU_DEP_1) | instskip(NEXT) | instid1(VALU_DEP_1)
	v_sub_nc_u32_e32 v8, v8, v21
	v_lshl_add_u32 v16, v8, 5, v19
	s_delay_alu instid0(VALU_DEP_1) | instskip(NEXT) | instid1(VALU_DEP_1)
	v_ashrrev_i32_e32 v8, 31, v16
	v_lshrrev_b32_e32 v8, 27, v8
	s_delay_alu instid0(VALU_DEP_1) | instskip(NEXT) | instid1(VALU_DEP_1)
	v_dual_cndmask_b32 v9, 0, v9 :: v_dual_add_nc_u32 v8, v16, v8
	v_add3_u32 v14, v18, v17, v9
	s_delay_alu instid0(VALU_DEP_2)
	v_ashrrev_i32_e32 v8, 5, v8
.LBB6_364:                              ;   in Loop: Header=BB6_274 Depth=3
	s_wait_alu 0xfffe
	s_or_b32 exec_lo, exec_lo, s15
	s_delay_alu instid0(SALU_CYCLE_1)
	s_and_b32 s13, s14, exec_lo
.LBB6_365:                              ;   in Loop: Header=BB6_274 Depth=3
	s_wait_alu 0xfffe
	s_or_b32 exec_lo, exec_lo, s40
	s_and_saveexec_b32 s48, s13
	s_cbranch_execz .LBB6_374
.LBB6_366:                              ;   in Loop: Header=BB6_274 Depth=3
	v_ashrrev_i32_e32 v9, 31, v15
	s_mov_b32 s49, exec_lo
	s_delay_alu instid0(VALU_DEP_1) | instskip(NEXT) | instid1(VALU_DEP_1)
	v_lshrrev_b32_e32 v9, 22, v9
	v_add_nc_u32_e32 v9, v15, v9
	s_delay_alu instid0(VALU_DEP_1) | instskip(SKIP_1) | instid1(VALU_DEP_2)
	v_ashrrev_i32_e32 v19, 10, v9
	v_ashrrev_i32_e32 v9, 31, v16
	v_sub_nc_u32_e32 v17, v19, v8
	s_delay_alu instid0(VALU_DEP_2) | instskip(NEXT) | instid1(VALU_DEP_2)
	v_lshrrev_b32_e32 v18, 27, v9
	v_cmpx_lt_i32_e32 0, v17
	s_cbranch_execz .LBB6_370
; %bb.367:                              ;   in Loop: Header=BB6_274 Depth=3
	s_delay_alu instid0(VALU_DEP_2)
	v_add_nc_u32_e32 v9, v16, v18
	s_trap 2
	ds_load_b64 v[10:11], v0
	v_lshlrev_b32_e32 v8, 10, v8
	v_add_co_u32 v20, vcc_lo, 0x3e0, v114
	v_and_b32_e32 v9, 0xffffffe0, v9
	s_wait_alu 0xfffd
	v_add_co_ci_u32_e64 v21, null, 0, v115, vcc_lo
	s_mov_b32 s50, 0
	v_sub_nc_u32_e32 v9, v16, v9
	s_delay_alu instid0(VALU_DEP_1) | instskip(NEXT) | instid1(VALU_DEP_1)
	v_add3_u32 v12, v14, v9, v8
	v_ashrrev_i32_e32 v13, 31, v12
	v_add_co_u32 v8, vcc_lo, v12, v112
	s_wait_alu 0xfffd
	s_delay_alu instid0(VALU_DEP_2)
	v_add_co_ci_u32_e64 v9, null, v13, v113, vcc_lo
	s_wait_dscnt 0x0
	v_add_co_u32 v10, vcc_lo, v10, v12
	s_wait_alu 0xfffd
	v_add_co_ci_u32_e64 v11, null, v11, v13, vcc_lo
	v_add_co_u32 v12, vcc_lo, v20, v12
	s_wait_alu 0xfffd
	v_add_co_ci_u32_e64 v13, null, v21, v13, vcc_lo
.LBB6_368:                              ;   Parent Loop BB6_47 Depth=1
                                        ;     Parent Loop BB6_271 Depth=2
                                        ;       Parent Loop BB6_274 Depth=3
                                        ; =>      This Inner Loop Header: Depth=4
	flat_load_u8 v50, v[8:9] th:TH_LOAD_NT
	flat_load_u8 v112, v[10:11] th:TH_LOAD_NT
	flat_load_u8 v113, v[8:9] offset:32 th:TH_LOAD_NT
	flat_load_u8 v114, v[10:11] offset:32 th:TH_LOAD_NT
	flat_load_u8 v115, v[8:9] offset:64 th:TH_LOAD_NT
	flat_load_u8 v116, v[10:11] offset:64 th:TH_LOAD_NT
	flat_load_u8 v117, v[8:9] offset:96 th:TH_LOAD_NT
	flat_load_u8 v118, v[10:11] offset:96 th:TH_LOAD_NT
	flat_load_u8 v119, v[8:9] offset:128 th:TH_LOAD_NT
	flat_load_u8 v128, v[10:11] offset:128 th:TH_LOAD_NT
	flat_load_u8 v129, v[8:9] offset:160 th:TH_LOAD_NT
	flat_load_u8 v40, v[10:11] offset:160 th:TH_LOAD_NT
	flat_load_u8 v41, v[8:9] offset:192 th:TH_LOAD_NT
	flat_load_u8 v42, v[10:11] offset:192 th:TH_LOAD_NT
	flat_load_u8 v43, v[8:9] offset:224 th:TH_LOAD_NT
	flat_load_u8 v44, v[10:11] offset:224 th:TH_LOAD_NT
	flat_load_u8 v45, v[8:9] offset:256 th:TH_LOAD_NT
	flat_load_u8 v46, v[10:11] offset:256 th:TH_LOAD_NT
	flat_load_u8 v47, v[8:9] offset:288 th:TH_LOAD_NT
	flat_load_u8 v56, v[10:11] offset:288 th:TH_LOAD_NT
	flat_load_u8 v57, v[8:9] offset:320 th:TH_LOAD_NT
	flat_load_u8 v58, v[10:11] offset:320 th:TH_LOAD_NT
	flat_load_u8 v59, v[8:9] offset:352 th:TH_LOAD_NT
	flat_load_u8 v60, v[10:11] offset:352 th:TH_LOAD_NT
	flat_load_u8 v61, v[8:9] offset:384 th:TH_LOAD_NT
	flat_load_u8 v62, v[10:11] offset:384 th:TH_LOAD_NT
	flat_load_u8 v63, v[8:9] offset:416 th:TH_LOAD_NT
	flat_load_u8 v72, v[10:11] offset:416 th:TH_LOAD_NT
	flat_load_u8 v73, v[8:9] offset:448 th:TH_LOAD_NT
	flat_load_u8 v74, v[10:11] offset:448 th:TH_LOAD_NT
	flat_load_u8 v75, v[8:9] offset:480 th:TH_LOAD_NT
	flat_load_u8 v76, v[10:11] offset:480 th:TH_LOAD_NT
	flat_load_u8 v77, v[8:9] offset:512 th:TH_LOAD_NT
	flat_load_u8 v78, v[10:11] offset:512 th:TH_LOAD_NT
	flat_load_u8 v79, v[8:9] offset:544 th:TH_LOAD_NT
	flat_load_u8 v88, v[10:11] offset:544 th:TH_LOAD_NT
	flat_load_u8 v89, v[8:9] offset:576 th:TH_LOAD_NT
	flat_load_u8 v90, v[10:11] offset:576 th:TH_LOAD_NT
	flat_load_u8 v91, v[8:9] offset:608 th:TH_LOAD_NT
	flat_load_u8 v92, v[10:11] offset:608 th:TH_LOAD_NT
	flat_load_u8 v93, v[8:9] offset:640 th:TH_LOAD_NT
	flat_load_u8 v94, v[10:11] offset:640 th:TH_LOAD_NT
	flat_load_u8 v95, v[8:9] offset:672 th:TH_LOAD_NT
	flat_load_u8 v104, v[10:11] offset:672 th:TH_LOAD_NT
	flat_load_u8 v105, v[8:9] offset:704 th:TH_LOAD_NT
	flat_load_u8 v106, v[10:11] offset:704 th:TH_LOAD_NT
	flat_load_u8 v107, v[8:9] offset:736 th:TH_LOAD_NT
	flat_load_u8 v108, v[10:11] offset:736 th:TH_LOAD_NT
	flat_load_u8 v109, v[8:9] offset:768 th:TH_LOAD_NT
	flat_load_u8 v110, v[10:11] offset:768 th:TH_LOAD_NT
	flat_load_u8 v111, v[8:9] offset:800 th:TH_LOAD_NT
	flat_load_u8 v120, v[10:11] offset:800 th:TH_LOAD_NT
	flat_load_u8 v121, v[8:9] offset:832 th:TH_LOAD_NT
	flat_load_u8 v122, v[10:11] offset:832 th:TH_LOAD_NT
	flat_load_u8 v123, v[8:9] offset:864 th:TH_LOAD_NT
	flat_load_u8 v124, v[10:11] offset:864 th:TH_LOAD_NT
	flat_load_u8 v125, v[8:9] offset:896 th:TH_LOAD_NT
	flat_load_u8 v126, v[10:11] offset:896 th:TH_LOAD_NT
	flat_load_u8 v127, v[8:9] offset:928 th:TH_LOAD_NT
	flat_load_u8 v136, v[10:11] offset:928 th:TH_LOAD_NT
	flat_load_u8 v137, v[8:9] offset:960 th:TH_LOAD_NT
	flat_load_u8 v138, v[10:11] offset:960 th:TH_LOAD_NT
	flat_load_u8 v139, v[8:9] offset:992 th:TH_LOAD_NT
	flat_load_u8 v140, v[10:11] offset:992 th:TH_LOAD_NT
	v_dual_mov_b32 v20, 0 :: v_dual_mov_b32 v21, 0
	v_dual_mov_b32 v22, 0 :: v_dual_mov_b32 v23, 0
	;; [unrolled: 1-line block ×15, first 2 shown]
	v_sub_nc_u32_e32 v17, v17, v135
	v_add_co_u32 v8, vcc_lo, v8, v150
	s_wait_alu 0xfffd
	v_add_co_ci_u32_e64 v9, null, 0, v9, vcc_lo
	v_add_co_u32 v10, vcc_lo, v10, v150
	s_wait_alu 0xfffd
	v_add_co_ci_u32_e64 v11, null, 0, v11, vcc_lo
	v_cmp_gt_i32_e32 vcc_lo, 1, v17
	s_wait_alu 0xfffe
	s_or_b32 s50, vcc_lo, s50
	s_wait_loadcnt_dscnt 0x3e3e
	v_cvt_f32_bf8_e32 v50, v50
	v_cvt_f32_bf8_e32 v112, v112
	s_wait_loadcnt_dscnt 0x3d3d
	v_cvt_f32_bf8_e32 v113, v113
	s_wait_loadcnt_dscnt 0x3c3c
	v_cvt_f32_bf8_e32 v114, v114
	s_wait_loadcnt_dscnt 0x3b3b
	v_cvt_f32_bf8_e32 v115, v115
	s_wait_loadcnt_dscnt 0x3a3a
	v_cvt_f32_bf8_e32 v116, v116
	s_wait_loadcnt_dscnt 0x3939
	v_cvt_f32_bf8_e32 v117, v117
	s_wait_loadcnt_dscnt 0x3838
	v_cvt_f32_bf8_e32 v118, v118
	s_wait_loadcnt_dscnt 0x3737
	v_cvt_f32_bf8_e32 v119, v119
	s_wait_loadcnt_dscnt 0x3636
	v_cvt_f32_bf8_e32 v128, v128
	v_dual_mov_b32 v157, 0 :: v_dual_mul_f32 v50, v50, v112
	s_wait_loadcnt_dscnt 0x3535
	v_cvt_f32_bf8_e32 v129, v129
	s_wait_loadcnt_dscnt 0x3434
	v_cvt_f32_bf8_e32 v40, v40
	;; [unrolled: 2-line block ×54, first 2 shown]
	v_dual_mov_b32 v159, 0 :: v_dual_mul_f32 v112, v113, v114
	v_dual_mul_f32 v113, v115, v116 :: v_dual_mul_f32 v114, v117, v118
	v_mul_f32_e32 v115, v119, v128
	v_mul_f32_e32 v116, v129, v40
	v_dual_mul_f32 v117, v41, v42 :: v_dual_mul_f32 v118, v43, v44
	v_dual_mul_f32 v119, v45, v46 :: v_dual_mul_f32 v128, v47, v56
	;; [unrolled: 1-line block ×13, first 2 shown]
	v_med3_num_f32 v77, v50, s89, 0xc7600000
	v_cmp_nlg_f32_e64 s62, 0x7f800000, |v50|
	v_med3_num_f32 v78, v112, s89, 0xc7600000
	v_cmp_nlg_f32_e64 s13, 0x7f800000, |v112|
	;; [unrolled: 2-line block ×32, first 2 shown]
	s_wait_alu 0xf1ff
	v_cndmask_b32_e64 v50, v77, v50, s62
	v_cndmask_b32_e64 v112, v78, v112, s13
	;; [unrolled: 1-line block ×32, first 2 shown]
	v_cvt_pk_bf8_f32 v20, v50, v50
	v_cvt_pk_bf8_f32 v21, v112, v112
	;; [unrolled: 1-line block ×32, first 2 shown]
	s_clause 0x1f
	flat_store_b8 v[12:13], v20 offset:-992 th:TH_STORE_NT
	flat_store_b8 v[12:13], v21 offset:-960 th:TH_STORE_NT
	;; [unrolled: 1-line block ×31, first 2 shown]
	flat_store_b8 v[12:13], v168 th:TH_STORE_NT
	v_add_co_u32 v12, s13, v12, v150
	s_wait_alu 0xf1ff
	v_add_co_ci_u32_e64 v13, null, 0, v13, s13
	s_wait_alu 0xfffe
	s_and_not1_b32 exec_lo, exec_lo, s50
	s_cbranch_execnz .LBB6_368
; %bb.369:                              ;   in Loop: Header=BB6_274 Depth=3
	s_or_b32 exec_lo, exec_lo, s50
.LBB6_370:                              ;   in Loop: Header=BB6_274 Depth=3
	s_wait_alu 0xfffe
	s_or_b32 exec_lo, exec_lo, s49
	v_lshlrev_b32_e32 v8, 10, v19
	s_delay_alu instid0(VALU_DEP_1)
	v_cmp_ne_u32_e32 vcc_lo, v15, v8
	s_and_b32 exec_lo, exec_lo, vcc_lo
	s_cbranch_execz .LBB6_374
; %bb.371:                              ;   in Loop: Header=BB6_274 Depth=3
	v_add_nc_u32_e32 v9, v16, v18
	v_lshlrev_b32_e32 v10, 5, v17
	s_delay_alu instid0(VALU_DEP_2) | instskip(NEXT) | instid1(VALU_DEP_1)
	v_and_b32_e32 v9, 0xffffffe0, v9
	v_sub_nc_u32_e32 v9, v16, v9
	s_delay_alu instid0(VALU_DEP_1) | instskip(NEXT) | instid1(VALU_DEP_1)
	v_sub_nc_u32_e32 v9, v9, v10
	v_add_nc_u32_e32 v8, v8, v9
	s_delay_alu instid0(VALU_DEP_1) | instskip(NEXT) | instid1(VALU_DEP_1)
	v_sub_nc_u32_e32 v15, v15, v8
	v_cmp_lt_i32_e32 vcc_lo, 0, v15
	s_and_b32 exec_lo, exec_lo, vcc_lo
	s_cbranch_execz .LBB6_374
; %bb.372:                              ;   in Loop: Header=BB6_274 Depth=3
	s_trap 2
	ds_load_b128 v[9:12], v0
	ds_load_b64 v[16:17], v0
	v_add_nc_u32_e32 v13, v8, v14
	s_mov_b32 s14, 0
	s_delay_alu instid0(VALU_DEP_1) | instskip(SKIP_3) | instid1(VALU_DEP_2)
	v_ashrrev_i32_e32 v14, 31, v13
	s_wait_dscnt 0x1
	v_add_co_u32 v8, vcc_lo, v9, v13
	s_wait_alu 0xfffd
	v_add_co_ci_u32_e64 v9, null, v10, v14, vcc_lo
	v_add_co_u32 v10, vcc_lo, v11, v13
	s_wait_alu 0xfffd
	v_add_co_ci_u32_e64 v11, null, v12, v14, vcc_lo
	s_wait_dscnt 0x0
	v_add_co_u32 v12, vcc_lo, v16, v13
	s_wait_alu 0xfffd
	v_add_co_ci_u32_e64 v13, null, v17, v14, vcc_lo
.LBB6_373:                              ;   Parent Loop BB6_47 Depth=1
                                        ;     Parent Loop BB6_271 Depth=2
                                        ;       Parent Loop BB6_274 Depth=3
                                        ; =>      This Inner Loop Header: Depth=4
	flat_load_u8 v14, v[10:11] th:TH_LOAD_NT
	flat_load_u8 v16, v[8:9] th:TH_LOAD_NT
	v_sub_nc_u32_e32 v15, v15, v144
	v_add_co_u32 v8, vcc_lo, v8, v144
	s_wait_alu 0xfffd
	v_add_co_ci_u32_e64 v9, null, 0, v9, vcc_lo
	v_add_co_u32 v10, vcc_lo, v10, v144
	s_wait_alu 0xfffd
	v_add_co_ci_u32_e64 v11, null, 0, v11, vcc_lo
	v_cmp_gt_i32_e32 vcc_lo, 1, v15
	s_wait_alu 0xfffe
	s_or_b32 s14, vcc_lo, s14
	s_wait_loadcnt_dscnt 0x101
	v_cvt_f32_bf8_e32 v14, v14
	s_wait_loadcnt_dscnt 0x0
	v_cvt_f32_bf8_e32 v16, v16
	s_delay_alu instid0(VALU_DEP_1) | instskip(NEXT) | instid1(VALU_DEP_1)
	v_dual_mov_b32 v17, 0 :: v_dual_mul_f32 v14, v14, v16
	v_med3_num_f32 v16, v14, s89, 0xc7600000
	v_cmp_nlg_f32_e64 s13, 0x7f800000, |v14|
	s_wait_alu 0xf1ff
	s_delay_alu instid0(VALU_DEP_1) | instskip(NEXT) | instid1(VALU_DEP_1)
	v_cndmask_b32_e64 v14, v16, v14, s13
	v_cvt_pk_bf8_f32 v17, v14, v14
	flat_store_b8 v[12:13], v17 th:TH_STORE_NT
	v_add_co_u32 v12, s13, v12, v144
	s_wait_alu 0xf1ff
	v_add_co_ci_u32_e64 v13, null, 0, v13, s13
	s_wait_alu 0xfffe
	s_and_not1_b32 exec_lo, exec_lo, s14
	s_cbranch_execnz .LBB6_373
.LBB6_374:                              ;   in Loop: Header=BB6_274 Depth=3
	s_wait_alu 0xfffe
	s_or_b32 exec_lo, exec_lo, s48
	v_cmp_lt_i32_e64 s13, 0, v3
	s_and_saveexec_b32 s14, s2
	s_cbranch_execz .LBB6_349
.LBB6_375:                              ;   in Loop: Header=BB6_274 Depth=3
	s_and_saveexec_b32 s15, s3
	s_wait_alu 0xfffe
	s_xor_b32 s15, exec_lo, s15
	s_cbranch_execz .LBB6_390
; %bb.376:                              ;   in Loop: Header=BB6_274 Depth=3
	s_and_saveexec_b32 s16, s6
	s_cbranch_execz .LBB6_389
; %bb.377:                              ;   in Loop: Header=BB6_274 Depth=3
	s_mov_b32 s18, exec_lo
	s_mov_b32 s17, exec_lo
	s_wait_alu 0xfffe
	v_mbcnt_lo_u32_b32 v3, s18, 0
	s_wait_storecnt 0x0
	s_wait_loadcnt_dscnt 0x0
	global_inv scope:SCOPE_DEV
	v_cmpx_eq_u32_e32 0, v3
	s_cbranch_execz .LBB6_379
; %bb.378:                              ;   in Loop: Header=BB6_274 Depth=3
	s_bcnt1_i32_b32 s18, s18
	s_wait_alu 0xfffe
	v_dual_mov_b32 v9, v2 :: v_dual_mov_b32 v8, s18
	s_wait_loadcnt 0x0
	ds_add_u64 v0, v[8:9]
	s_trap 2
.LBB6_379:                              ;   in Loop: Header=BB6_274 Depth=3
	s_or_b32 exec_lo, exec_lo, s17
	s_trap 2
	ds_load_b64 v[8:9], v0
	s_wait_dscnt 0x0
	global_inv scope:SCOPE_SE
	v_add_co_u32 v70, vcc_lo, v70, v135
	s_wait_alu 0xfffd
	v_add_co_ci_u32_e64 v71, null, 0, v71, vcc_lo
	s_mov_b32 s17, exec_lo
	v_cmpx_lt_u64_e64 v[8:9], v[70:71]
	s_cbranch_execz .LBB6_388
; %bb.380:                              ;   in Loop: Header=BB6_274 Depth=3
	s_mov_b32 s18, 0
	s_mov_b32 s21, 0
                                        ; implicit-def: $sgpr19
                                        ; implicit-def: $sgpr20
	s_branch .LBB6_382
.LBB6_381:                              ;   in Loop: Header=BB6_382 Depth=4
	s_wait_alu 0xfffe
	s_or_b32 exec_lo, exec_lo, s23
	s_delay_alu instid0(SALU_CYCLE_1)
	s_and_b32 s22, exec_lo, s24
	s_wait_alu 0xfffe
	s_or_b32 s18, s22, s18
	s_and_not1_b32 s19, s19, exec_lo
	s_and_b32 s22, s20, exec_lo
	s_wait_alu 0xfffe
	s_or_b32 s19, s19, s22
	s_and_not1_b32 exec_lo, exec_lo, s18
	s_cbranch_execz .LBB6_386
.LBB6_382:                              ;   Parent Loop BB6_47 Depth=1
                                        ;     Parent Loop BB6_271 Depth=2
                                        ;       Parent Loop BB6_274 Depth=3
                                        ; =>      This Inner Loop Header: Depth=4
	s_wait_alu 0xfffe
	s_add_co_i32 s21, s21, 1
	s_wait_alu 0xfffe
	s_cmp_lg_u32 s21, 0x2710
	s_cselect_b32 s22, -1, 0
	s_wait_alu 0xfffe
	s_and_b32 vcc_lo, exec_lo, s22
	s_wait_alu 0xfffe
	s_cbranch_vccz .LBB6_384
; %bb.383:                              ;   in Loop: Header=BB6_382 Depth=4
	s_mov_b32 s24, -1
	s_or_b32 s20, s20, exec_lo
	s_and_saveexec_b32 s23, s22
	s_cbranch_execz .LBB6_381
	s_branch .LBB6_385
.LBB6_384:                              ;   in Loop: Header=BB6_382 Depth=4
	s_trap 2
	ds_load_b64 v[8:9], v0
	s_and_not1_b32 s22, s22, exec_lo
	s_mov_b32 s21, 0
	s_wait_loadcnt_dscnt 0x0
	flat_load_b32 v3, v[8:9] scope:SCOPE_SYS
	s_wait_loadcnt_dscnt 0x0
	global_inv scope:SCOPE_SYS
	v_cmp_eq_u32_e32 vcc_lo, 0, v3
	s_and_b32 s23, vcc_lo, exec_lo
	s_wait_alu 0xfffe
	s_or_b32 s22, s22, s23
	s_mov_b32 s24, -1
	s_or_b32 s20, s20, exec_lo
	s_wait_alu 0xfffe
	s_and_saveexec_b32 s23, s22
	s_cbranch_execz .LBB6_381
.LBB6_385:                              ;   in Loop: Header=BB6_382 Depth=4
	s_sleep 1
	s_trap 2
	ds_load_b64 v[8:9], v0
	s_wait_dscnt 0x0
	global_inv scope:SCOPE_SE
	s_wait_alu 0xfffe
	s_and_not1_b32 s20, s20, exec_lo
	v_cmp_ge_u64_e32 vcc_lo, v[8:9], v[70:71]
	s_or_not1_b32 s24, vcc_lo, exec_lo
	s_branch .LBB6_381
.LBB6_386:                              ;   in Loop: Header=BB6_274 Depth=3
	s_or_b32 exec_lo, exec_lo, s18
	s_wait_alu 0xfffe
	s_and_saveexec_b32 s18, s19
	s_wait_alu 0xfffe
	s_xor_b32 s18, exec_lo, s18
	s_cbranch_execz .LBB6_388
; %bb.387:                              ;   in Loop: Header=BB6_274 Depth=3
	ds_store_b32 v0, v145
	s_trap 2
.LBB6_388:                              ;   in Loop: Header=BB6_274 Depth=3
	s_wait_alu 0xfffe
	s_or_b32 exec_lo, exec_lo, s17
	;;#ASMSTART
	s_wakeup
	;;#ASMEND
.LBB6_389:                              ;   in Loop: Header=BB6_274 Depth=3
	s_wait_alu 0xfffe
	s_or_b32 exec_lo, exec_lo, s16
.LBB6_390:                              ;   in Loop: Header=BB6_274 Depth=3
	s_wait_alu 0xfffe
	s_and_not1_saveexec_b32 s15, s15
	s_cbranch_execz .LBB6_392
; %bb.391:                              ;   in Loop: Header=BB6_274 Depth=3
	s_wait_storecnt 0x0
	s_wait_loadcnt_dscnt 0x0
	global_inv scope:SCOPE_DEV
	s_barrier_signal -1
	s_barrier_wait -1
.LBB6_392:                              ;   in Loop: Header=BB6_274 Depth=3
	s_wait_alu 0xfffe
	s_or_b32 exec_lo, exec_lo, s15
	s_delay_alu instid0(SALU_CYCLE_1)
	s_or_b32 exec_lo, exec_lo, s14
                                        ; implicit-def: $vgpr3
	s_and_saveexec_b32 s14, s10
	s_wait_alu 0xfffe
	s_xor_b32 s14, exec_lo, s14
	s_cbranch_execnz .LBB6_350
.LBB6_393:                              ;   in Loop: Header=BB6_274 Depth=3
	s_wait_alu 0xfffe
	s_and_not1_saveexec_b32 s13, s14
	s_cbranch_execz .LBB6_412
.LBB6_394:                              ;   in Loop: Header=BB6_274 Depth=3
	s_and_saveexec_b32 s14, s3
	s_wait_alu 0xfffe
	s_xor_b32 s14, exec_lo, s14
	s_cbranch_execz .LBB6_409
; %bb.395:                              ;   in Loop: Header=BB6_274 Depth=3
	s_and_saveexec_b32 s15, s6
	s_cbranch_execz .LBB6_408
; %bb.396:                              ;   in Loop: Header=BB6_274 Depth=3
	s_mov_b32 s17, exec_lo
	s_mov_b32 s16, exec_lo
	s_wait_alu 0xfffe
	v_mbcnt_lo_u32_b32 v3, s17, 0
	;;#ASMSTART
	s_waitcnt lgkmcnt(0) vmcnt(0)
	;;#ASMEND
	s_delay_alu instid0(VALU_DEP_1)
	v_cmpx_eq_u32_e32 0, v3
	s_cbranch_execz .LBB6_398
; %bb.397:                              ;   in Loop: Header=BB6_274 Depth=3
	s_bcnt1_i32_b32 s17, s17
	s_wait_alu 0xfffe
	v_dual_mov_b32 v9, v2 :: v_dual_mov_b32 v8, s17
	s_wait_storecnt 0x0
	s_wait_loadcnt_dscnt 0x0
	ds_add_u64 v0, v[8:9]
	s_trap 2
.LBB6_398:                              ;   in Loop: Header=BB6_274 Depth=3
	s_or_b32 exec_lo, exec_lo, s16
	s_trap 2
	ds_load_b64 v[8:9], v0
	s_wait_dscnt 0x0
	global_inv scope:SCOPE_SE
	v_add_co_u32 v70, vcc_lo, v70, v135
	s_wait_alu 0xfffd
	v_add_co_ci_u32_e64 v71, null, 0, v71, vcc_lo
	s_mov_b32 s16, exec_lo
	v_cmpx_lt_u64_e64 v[8:9], v[70:71]
	s_cbranch_execz .LBB6_407
; %bb.399:                              ;   in Loop: Header=BB6_274 Depth=3
	s_mov_b32 s17, 0
	s_mov_b32 s20, 0
                                        ; implicit-def: $sgpr18
                                        ; implicit-def: $sgpr19
	s_branch .LBB6_401
.LBB6_400:                              ;   in Loop: Header=BB6_401 Depth=4
	s_wait_alu 0xfffe
	s_or_b32 exec_lo, exec_lo, s22
	s_delay_alu instid0(SALU_CYCLE_1)
	s_and_b32 s21, exec_lo, s23
	s_wait_alu 0xfffe
	s_or_b32 s17, s21, s17
	s_and_not1_b32 s18, s18, exec_lo
	s_and_b32 s21, s19, exec_lo
	s_wait_alu 0xfffe
	s_or_b32 s18, s18, s21
	s_and_not1_b32 exec_lo, exec_lo, s17
	s_cbranch_execz .LBB6_405
.LBB6_401:                              ;   Parent Loop BB6_47 Depth=1
                                        ;     Parent Loop BB6_271 Depth=2
                                        ;       Parent Loop BB6_274 Depth=3
                                        ; =>      This Inner Loop Header: Depth=4
	s_wait_alu 0xfffe
	s_add_co_i32 s20, s20, 1
	s_wait_alu 0xfffe
	s_cmp_lg_u32 s20, 0x2710
	s_cselect_b32 s21, -1, 0
	s_wait_alu 0xfffe
	s_and_b32 vcc_lo, exec_lo, s21
	s_wait_alu 0xfffe
	s_cbranch_vccz .LBB6_403
; %bb.402:                              ;   in Loop: Header=BB6_401 Depth=4
	s_mov_b32 s23, -1
	s_or_b32 s19, s19, exec_lo
	s_and_saveexec_b32 s22, s21
	s_cbranch_execz .LBB6_400
	s_branch .LBB6_404
.LBB6_403:                              ;   in Loop: Header=BB6_401 Depth=4
	s_trap 2
	ds_load_b64 v[8:9], v0
	s_and_not1_b32 s21, s21, exec_lo
	s_mov_b32 s20, 0
	s_wait_storecnt 0x0
	s_wait_loadcnt_dscnt 0x0
	flat_load_b32 v3, v[8:9] scope:SCOPE_SYS
	s_wait_loadcnt_dscnt 0x0
	global_inv scope:SCOPE_SYS
	v_cmp_eq_u32_e32 vcc_lo, 0, v3
	s_and_b32 s22, vcc_lo, exec_lo
	s_wait_alu 0xfffe
	s_or_b32 s21, s21, s22
	s_mov_b32 s23, -1
	s_or_b32 s19, s19, exec_lo
	s_wait_alu 0xfffe
	s_and_saveexec_b32 s22, s21
	s_cbranch_execz .LBB6_400
.LBB6_404:                              ;   in Loop: Header=BB6_401 Depth=4
	s_sleep 1
	s_trap 2
	ds_load_b64 v[8:9], v0
	s_wait_dscnt 0x0
	global_inv scope:SCOPE_SE
	s_wait_alu 0xfffe
	s_and_not1_b32 s19, s19, exec_lo
	v_cmp_ge_u64_e32 vcc_lo, v[8:9], v[70:71]
	s_or_not1_b32 s23, vcc_lo, exec_lo
	s_branch .LBB6_400
.LBB6_405:                              ;   in Loop: Header=BB6_274 Depth=3
	s_or_b32 exec_lo, exec_lo, s17
	s_wait_alu 0xfffe
	s_and_saveexec_b32 s17, s18
	s_wait_alu 0xfffe
	s_xor_b32 s17, exec_lo, s17
	s_cbranch_execz .LBB6_407
; %bb.406:                              ;   in Loop: Header=BB6_274 Depth=3
	ds_store_b32 v0, v145
	s_trap 2
.LBB6_407:                              ;   in Loop: Header=BB6_274 Depth=3
	s_wait_alu 0xfffe
	s_or_b32 exec_lo, exec_lo, s16
	;;#ASMSTART
	s_wakeup
	;;#ASMEND
.LBB6_408:                              ;   in Loop: Header=BB6_274 Depth=3
	s_wait_alu 0xfffe
	s_or_b32 exec_lo, exec_lo, s15
.LBB6_409:                              ;   in Loop: Header=BB6_274 Depth=3
	s_wait_alu 0xfffe
	s_and_not1_saveexec_b32 s14, s14
	s_cbranch_execz .LBB6_411
; %bb.410:                              ;   in Loop: Header=BB6_274 Depth=3
	;;#ASMSTART
	s_waitcnt lgkmcnt(0) vmcnt(0)
	;;#ASMEND
	s_barrier_signal -1
	s_barrier_wait -1
.LBB6_411:                              ;   in Loop: Header=BB6_274 Depth=3
	s_wait_alu 0xfffe
	s_or_b32 exec_lo, exec_lo, s14
	v_and_b32_e32 v3, 16, v30
.LBB6_412:                              ;   in Loop: Header=BB6_274 Depth=3
	s_wait_alu 0xfffe
	s_or_b32 exec_lo, exec_lo, s13
	s_delay_alu instid0(VALU_DEP_1)
	v_cmp_ne_u32_e32 vcc_lo, 0, v3
	s_xor_b32 s13, s4, -1
	s_wait_alu 0xfffe
	s_and_b32 s14, vcc_lo, s13
	s_wait_alu 0xfffe
	s_and_saveexec_b32 s13, s14
	s_cbranch_execz .LBB6_414
; %bb.413:                              ;   in Loop: Header=BB6_274 Depth=3
	global_wb scope:SCOPE_SYS
	s_wait_storecnt 0x0
	s_wait_loadcnt_dscnt 0x0
	flat_store_b32 v[68:69], v145 scope:SCOPE_SYS
.LBB6_414:                              ;   in Loop: Header=BB6_274 Depth=3
	s_wait_alu 0xfffe
	s_or_b32 exec_lo, exec_lo, s13
	v_and_b32_e32 v3, 48, v30
	s_mov_b32 s13, exec_lo
	s_delay_alu instid0(VALU_DEP_1)
	v_cmpx_ne_u32_e32 0, v3
	s_cbranch_execz .LBB6_273
; %bb.415:                              ;   in Loop: Header=BB6_274 Depth=3
	v_add_co_u32 v96, vcc_lo, v96, 2
	s_wait_alu 0xfffd
	v_add_co_ci_u32_e64 v97, null, 0, v97, vcc_lo
	global_wb scope:SCOPE_SYS
	s_wait_storecnt 0x0
	s_wait_loadcnt_dscnt 0x0
	flat_store_b64 v[64:65], v[96:97] scope:SCOPE_SYS
	s_branch .LBB6_273
.LBB6_416:                              ;   in Loop: Header=BB6_271 Depth=2
	s_or_b32 exec_lo, exec_lo, s37
.LBB6_417:                              ;   in Loop: Header=BB6_271 Depth=2
	s_wait_alu 0xfffe
	s_or_b32 exec_lo, exec_lo, s36
	s_delay_alu instid0(SALU_CYCLE_1)
	s_mov_b32 s14, exec_lo
	v_cmpx_gt_i32_e32 2, v3
	s_cbranch_execz .LBB6_270
; %bb.418:                              ;   in Loop: Header=BB6_271 Depth=2
	v_cmp_eq_u32_e64 s16, 0, v3
	s_mov_b32 s15, 0
	s_branch .LBB6_420
.LBB6_419:                              ;   in Loop: Header=BB6_420 Depth=3
	s_wait_alu 0xfffe
	s_or_b32 exec_lo, exec_lo, s13
	v_add_nc_u32_e32 v131, v100, v131
	s_mov_b32 s16, 0
	s_and_not1_b32 exec_lo, exec_lo, s15
	s_cbranch_execz .LBB6_269
.LBB6_420:                              ;   Parent Loop BB6_47 Depth=1
                                        ;     Parent Loop BB6_271 Depth=2
                                        ; =>    This Loop Header: Depth=3
                                        ;         Child Loop BB6_426 Depth 4
                                        ;         Child Loop BB6_454 Depth 4
	;; [unrolled: 1-line block ×3, first 2 shown]
	s_delay_alu instid0(VALU_DEP_1) | instskip(SKIP_2) | instid1(VALU_DEP_2)
	v_sub_nc_u32_e32 v3, v130, v131
	v_and_b32_e32 v8, 12, v30
	s_mov_b32 s17, exec_lo
	v_min_i32_e32 v100, v100, v3
	s_delay_alu instid0(VALU_DEP_2)
	v_cmpx_ne_u32_e32 0, v8
	s_cbranch_execz .LBB6_446
; %bb.421:                              ;   in Loop: Header=BB6_420 Depth=3
	v_and_b32_e32 v3, 8, v30
	s_mov_b32 s18, exec_lo
	s_delay_alu instid0(VALU_DEP_1)
	v_add_co_u32 v10, vcc_lo, v80, v3
	s_wait_alu 0xfffd
	v_add_co_ci_u32_e64 v11, null, 0, v81, vcc_lo
	v_add_co_u32 v8, vcc_lo, v96, 2
	s_wait_alu 0xfffd
	v_add_co_ci_u32_e64 v9, null, 0, v97, vcc_lo
	s_delay_alu instid0(VALU_DEP_1)
	v_cmpx_lt_u64_e64 v[10:11], v[8:9]
	s_cbranch_execz .LBB6_433
; %bb.422:                              ;   in Loop: Header=BB6_420 Depth=3
	v_and_b32_e32 v10, 64, v30
	s_mov_b32 s19, 0
	s_mov_b32 s23, 0
                                        ; implicit-def: $sgpr20
                                        ; implicit-def: $sgpr21
                                        ; implicit-def: $sgpr22
	s_delay_alu instid0(VALU_DEP_1)
	v_cmp_eq_u32_e32 vcc_lo, 0, v10
	s_branch .LBB6_426
.LBB6_423:                              ;   in Loop: Header=BB6_426 Depth=4
	v_add_co_u32 v11, s13, v80, v3
	s_wait_alu 0xf1ff
	v_add_co_ci_u32_e64 v12, null, 0, v81, s13
	s_or_b32 s26, s26, exec_lo
	v_cmp_ge_u64_e64 s13, v[11:12], v[8:9]
	s_or_not1_b32 s25, s13, exec_lo
.LBB6_424:                              ;   in Loop: Header=BB6_426 Depth=4
	s_wait_alu 0xfffe
	s_or_b32 exec_lo, exec_lo, s28
	s_delay_alu instid0(SALU_CYCLE_1)
	s_and_not1_b32 s13, s22, exec_lo
	s_and_b32 s22, s26, exec_lo
	s_and_not1_b32 s21, s21, exec_lo
	s_and_b32 s25, s25, exec_lo
	s_wait_alu 0xfffe
	s_or_b32 s22, s13, s22
	s_or_b32 s21, s21, s25
.LBB6_425:                              ;   in Loop: Header=BB6_426 Depth=4
	s_wait_alu 0xfffe
	s_or_b32 exec_lo, exec_lo, s24
	s_delay_alu instid0(SALU_CYCLE_1)
	s_and_b32 s13, exec_lo, s21
	s_wait_alu 0xfffe
	s_or_b32 s19, s13, s19
	s_and_not1_b32 s13, s20, exec_lo
	s_and_b32 s20, s22, exec_lo
	s_wait_alu 0xfffe
	s_or_b32 s20, s13, s20
	s_and_not1_b32 exec_lo, exec_lo, s19
	s_cbranch_execz .LBB6_430
.LBB6_426:                              ;   Parent Loop BB6_47 Depth=1
                                        ;     Parent Loop BB6_271 Depth=2
                                        ;       Parent Loop BB6_420 Depth=3
                                        ; =>      This Inner Loop Header: Depth=4
	s_sleep 1
	flat_load_b64 v[80:81], v[64:65] scope:SCOPE_SYS
	s_wait_loadcnt_dscnt 0x0
	global_inv scope:SCOPE_SYS
	s_or_b32 s22, s22, exec_lo
	s_or_b32 s21, s21, exec_lo
                                        ; implicit-def: $vgpr10
	s_and_saveexec_b32 s24, vcc_lo
	s_cbranch_execz .LBB6_425
; %bb.427:                              ;   in Loop: Header=BB6_426 Depth=4
	s_wait_alu 0xfffe
	s_cmp_lt_i32 s23, 0x270f
	s_mov_b32 s25, -1
	s_cselect_b32 s27, -1, 0
	s_cmp_gt_i32 s23, 0x270e
	s_cbranch_scc0 .LBB6_429
; %bb.428:                              ;   in Loop: Header=BB6_426 Depth=4
	s_trap 2
	ds_load_b64 v[10:11], v0
	s_wait_alu 0xfffe
	s_and_not1_b32 s23, s27, exec_lo
	s_mov_b32 s26, 0
	s_wait_storecnt 0x0
	s_wait_loadcnt_dscnt 0x0
	flat_load_b32 v10, v[10:11] scope:SCOPE_SYS
	s_wait_loadcnt_dscnt 0x0
	global_inv scope:SCOPE_SYS
	v_cmp_eq_u32_e64 s13, 0, v10
	s_and_b32 s13, s13, exec_lo
	s_wait_alu 0xfffe
	s_or_b32 s27, s23, s13
	s_mov_b32 s23, 0
	s_wait_alu 0xfffe
	s_and_saveexec_b32 s28, s27
	s_cbranch_execz .LBB6_424
	s_branch .LBB6_423
.LBB6_429:                              ;   in Loop: Header=BB6_426 Depth=4
	s_add_co_i32 s23, s23, 1
	s_mov_b32 s26, -1
                                        ; implicit-def: $vgpr10
	s_wait_alu 0xfffe
	s_and_saveexec_b32 s28, s27
	s_cbranch_execz .LBB6_424
	s_branch .LBB6_423
.LBB6_430:                              ;   in Loop: Header=BB6_420 Depth=3
	s_or_b32 exec_lo, exec_lo, s19
	s_wait_alu 0xfffe
	s_xor_b32 s13, s20, -1
	s_wait_alu 0xfffe
	s_and_saveexec_b32 s19, s13
	s_wait_alu 0xfffe
	s_xor_b32 s13, exec_lo, s19
	s_cbranch_execz .LBB6_432
; %bb.431:                              ;   in Loop: Header=BB6_420 Depth=3
	v_or_b32_e32 v30, 64, v30
	s_wait_loadcnt 0x0
	s_wait_storecnt 0x0
	ds_store_b32 v0, v10
	s_trap 2
.LBB6_432:                              ;   in Loop: Header=BB6_420 Depth=3
	s_wait_alu 0xfffe
	s_or_b32 exec_lo, exec_lo, s13
.LBB6_433:                              ;   in Loop: Header=BB6_420 Depth=3
	s_wait_alu 0xfffe
	s_or_b32 exec_lo, exec_lo, s18
	v_and_b32_e32 v10, 0x108, v30
	;;#ASMSTART
	s_wakeup
	;;#ASMEND
	s_delay_alu instid0(VALU_DEP_1)
	v_cmp_ne_u32_e32 vcc_lo, 0x108, v10
                                        ; implicit-def: $vgpr10_vgpr11
	s_and_saveexec_b32 s13, vcc_lo
	s_wait_alu 0xfffe
	s_xor_b32 s13, exec_lo, s13
; %bb.434:                              ;   in Loop: Header=BB6_420 Depth=3
	v_dual_mov_b32 v11, v2 :: v_dual_and_b32 v10, 7, v96
                                        ; implicit-def: $vgpr96_vgpr97
; %bb.435:                              ;   in Loop: Header=BB6_420 Depth=3
	s_wait_alu 0xfffe
	s_and_not1_saveexec_b32 s13, s13
	s_cbranch_execz .LBB6_437
; %bb.436:                              ;   in Loop: Header=BB6_420 Depth=3
	v_dual_mov_b32 v11, v2 :: v_dual_and_b32 v10, 7, v96
	v_ashrrev_i32_e32 v101, 31, v100
	s_delay_alu instid0(VALU_DEP_2)
	v_mad_co_u64_u32 v[12:13], null, v10, 24, v[6:7]
	flat_store_b64 v[12:13], v[100:101] offset:8
.LBB6_437:                              ;   in Loop: Header=BB6_420 Depth=3
	s_wait_alu 0xfffe
	s_or_b32 exec_lo, exec_lo, s13
	v_and_b32_e32 v12, 0x100, v30
	s_mov_b32 s13, -1
	s_delay_alu instid0(VALU_DEP_1)
	v_cmp_ne_u32_e32 vcc_lo, 0, v12
                                        ; implicit-def: $vgpr12_vgpr13
	s_and_saveexec_b32 s18, vcc_lo
	s_cbranch_execz .LBB6_441
; %bb.438:                              ;   in Loop: Header=BB6_420 Depth=3
	v_mad_co_u64_u32 v[14:15], null, v10, 24, v[6:7]
	s_delay_alu instid0(VALU_DEP_1) | instskip(NEXT) | instid1(VALU_DEP_1)
	v_mov_b32_e32 v12, v15
	v_mad_co_u64_u32 v[12:13], null, v11, 24, v[12:13]
	s_delay_alu instid0(VALU_DEP_1)
	v_mov_b32_e32 v15, v12
	flat_load_b32 v12, v[14:15]
	s_wait_loadcnt_dscnt 0x0
	v_cmp_eq_u32_e64 s13, 1, v12
	v_cmp_ne_u32_e32 vcc_lo, 1, v12
                                        ; implicit-def: $vgpr12_vgpr13
	s_wait_alu 0xfffe
	s_and_saveexec_b32 s19, s13
	s_cbranch_execz .LBB6_440
; %bb.439:                              ;   in Loop: Header=BB6_420 Depth=3
	flat_load_b32 v12, v[14:15] offset:4 scope:SCOPE_SYS
	s_wait_loadcnt_dscnt 0x0
	v_ashrrev_i32_e32 v13, 31, v12
.LBB6_440:                              ;   in Loop: Header=BB6_420 Depth=3
	s_wait_alu 0xfffe
	s_or_b32 exec_lo, exec_lo, s19
	s_delay_alu instid0(SALU_CYCLE_1)
	s_or_not1_b32 s13, vcc_lo, exec_lo
.LBB6_441:                              ;   in Loop: Header=BB6_420 Depth=3
	s_wait_alu 0xfffe
	s_or_b32 exec_lo, exec_lo, s18
	s_and_saveexec_b32 s18, s13
; %bb.442:                              ;   in Loop: Header=BB6_420 Depth=3
	v_mul_lo_u32 v11, v11, v132
	v_mul_lo_u32 v14, v10, v134
	v_mad_co_u64_u32 v[12:13], null, v10, v132, 0
	s_delay_alu instid0(VALU_DEP_1)
	v_add3_u32 v13, v13, v14, v11
; %bb.443:                              ;   in Loop: Header=BB6_420 Depth=3
	s_wait_alu 0xfffe
	s_or_b32 exec_lo, exec_lo, s18
	v_cmp_eq_u32_e32 vcc_lo, 0, v3
	v_and_b32_e32 v14, 0x2000, v30
	s_mov_b32 s13, exec_lo
	s_wait_alu 0xfffd
	v_cndmask_b32_e32 v3, 0xc8, v146, vcc_lo
	v_add_co_u32 v10, vcc_lo, v66, v12
	s_wait_alu 0xfffd
	v_add_co_ci_u32_e64 v11, null, v67, v13, vcc_lo
	s_delay_alu instid0(VALU_DEP_3)
	v_add_nc_u32_e32 v3, v0, v3
	ds_store_b64 v3, v[10:11] offset:584
	v_cmpx_ne_u32_e32 0, v14
	s_cbranch_execz .LBB6_445
; %bb.444:                              ;   in Loop: Header=BB6_420 Depth=3
	ds_load_b64 v[10:11], v0 offset:872
	s_wait_dscnt 0x0
	v_add_co_u32 v10, vcc_lo, v10, 1
	s_wait_alu 0xfffd
	v_add_co_ci_u32_e64 v11, null, 0, v11, vcc_lo
	ds_store_b64 v0, v[10:11] offset:872
.LBB6_445:                              ;   in Loop: Header=BB6_420 Depth=3
	s_wait_alu 0xfffe
	s_or_b32 exec_lo, exec_lo, s13
	v_dual_mov_b32 v97, v9 :: v_dual_mov_b32 v96, v8
.LBB6_446:                              ;   in Loop: Header=BB6_420 Depth=3
	s_wait_alu 0xfffe
	s_or_b32 exec_lo, exec_lo, s17
	s_xor_b32 s13, s16, -1
	s_wait_alu 0xfffe
	s_and_b32 s13, exec_lo, s13
	s_wait_alu 0xfffe
	s_or_b32 s15, s13, s15
	s_and_saveexec_b32 s13, s2
	s_cbranch_execz .LBB6_465
; %bb.447:                              ;   in Loop: Header=BB6_420 Depth=3
	s_and_saveexec_b32 s16, s3
	s_wait_alu 0xfffe
	s_xor_b32 s16, exec_lo, s16
	s_cbranch_execz .LBB6_462
; %bb.448:                              ;   in Loop: Header=BB6_420 Depth=3
	s_and_saveexec_b32 s17, s6
	s_cbranch_execz .LBB6_461
; %bb.449:                              ;   in Loop: Header=BB6_420 Depth=3
	s_mov_b32 s19, exec_lo
	s_mov_b32 s18, exec_lo
	s_wait_alu 0xfffe
	v_mbcnt_lo_u32_b32 v3, s19, 0
	s_wait_storecnt 0x0
	s_wait_loadcnt_dscnt 0x0
	global_inv scope:SCOPE_DEV
	v_cmpx_eq_u32_e32 0, v3
	s_cbranch_execz .LBB6_451
; %bb.450:                              ;   in Loop: Header=BB6_420 Depth=3
	s_bcnt1_i32_b32 s19, s19
	s_wait_alu 0xfffe
	v_dual_mov_b32 v9, v2 :: v_dual_mov_b32 v8, s19
	s_wait_loadcnt 0x0
	ds_add_u64 v0, v[8:9]
	s_trap 2
.LBB6_451:                              ;   in Loop: Header=BB6_420 Depth=3
	s_or_b32 exec_lo, exec_lo, s18
	s_trap 2
	ds_load_b64 v[8:9], v0
	s_wait_dscnt 0x0
	global_inv scope:SCOPE_SE
	v_add_co_u32 v70, vcc_lo, v70, v135
	s_wait_alu 0xfffd
	v_add_co_ci_u32_e64 v71, null, 0, v71, vcc_lo
	s_mov_b32 s18, exec_lo
	v_cmpx_lt_u64_e64 v[8:9], v[70:71]
	s_cbranch_execz .LBB6_460
; %bb.452:                              ;   in Loop: Header=BB6_420 Depth=3
	s_mov_b32 s19, 0
	s_mov_b32 s22, 0
                                        ; implicit-def: $sgpr20
                                        ; implicit-def: $sgpr21
	s_branch .LBB6_454
.LBB6_453:                              ;   in Loop: Header=BB6_454 Depth=4
	s_wait_alu 0xfffe
	s_or_b32 exec_lo, exec_lo, s24
	s_delay_alu instid0(SALU_CYCLE_1)
	s_and_b32 s23, exec_lo, s25
	s_wait_alu 0xfffe
	s_or_b32 s19, s23, s19
	s_and_not1_b32 s20, s20, exec_lo
	s_and_b32 s23, s21, exec_lo
	s_wait_alu 0xfffe
	s_or_b32 s20, s20, s23
	s_and_not1_b32 exec_lo, exec_lo, s19
	s_cbranch_execz .LBB6_458
.LBB6_454:                              ;   Parent Loop BB6_47 Depth=1
                                        ;     Parent Loop BB6_271 Depth=2
                                        ;       Parent Loop BB6_420 Depth=3
                                        ; =>      This Inner Loop Header: Depth=4
	s_wait_alu 0xfffe
	s_add_co_i32 s22, s22, 1
	s_wait_alu 0xfffe
	s_cmp_lg_u32 s22, 0x2710
	s_cselect_b32 s23, -1, 0
	s_wait_alu 0xfffe
	s_and_b32 vcc_lo, exec_lo, s23
	s_wait_alu 0xfffe
	s_cbranch_vccz .LBB6_456
; %bb.455:                              ;   in Loop: Header=BB6_454 Depth=4
	s_mov_b32 s25, -1
	s_or_b32 s21, s21, exec_lo
	s_and_saveexec_b32 s24, s23
	s_cbranch_execz .LBB6_453
	s_branch .LBB6_457
.LBB6_456:                              ;   in Loop: Header=BB6_454 Depth=4
	s_trap 2
	ds_load_b64 v[8:9], v0
	s_and_not1_b32 s23, s23, exec_lo
	s_mov_b32 s22, 0
	s_wait_loadcnt_dscnt 0x0
	flat_load_b32 v3, v[8:9] scope:SCOPE_SYS
	s_wait_loadcnt_dscnt 0x0
	global_inv scope:SCOPE_SYS
	v_cmp_eq_u32_e32 vcc_lo, 0, v3
	s_and_b32 s24, vcc_lo, exec_lo
	s_wait_alu 0xfffe
	s_or_b32 s23, s23, s24
	s_mov_b32 s25, -1
	s_or_b32 s21, s21, exec_lo
	s_wait_alu 0xfffe
	s_and_saveexec_b32 s24, s23
	s_cbranch_execz .LBB6_453
.LBB6_457:                              ;   in Loop: Header=BB6_454 Depth=4
	s_sleep 1
	s_trap 2
	ds_load_b64 v[8:9], v0
	s_wait_dscnt 0x0
	global_inv scope:SCOPE_SE
	s_wait_alu 0xfffe
	s_and_not1_b32 s21, s21, exec_lo
	v_cmp_ge_u64_e32 vcc_lo, v[8:9], v[70:71]
	s_or_not1_b32 s25, vcc_lo, exec_lo
	s_branch .LBB6_453
.LBB6_458:                              ;   in Loop: Header=BB6_420 Depth=3
	s_or_b32 exec_lo, exec_lo, s19
	s_wait_alu 0xfffe
	s_and_saveexec_b32 s19, s20
	s_wait_alu 0xfffe
	s_xor_b32 s19, exec_lo, s19
	s_cbranch_execz .LBB6_460
; %bb.459:                              ;   in Loop: Header=BB6_420 Depth=3
	ds_store_b32 v0, v145
	s_trap 2
.LBB6_460:                              ;   in Loop: Header=BB6_420 Depth=3
	s_wait_alu 0xfffe
	s_or_b32 exec_lo, exec_lo, s18
	;;#ASMSTART
	s_wakeup
	;;#ASMEND
.LBB6_461:                              ;   in Loop: Header=BB6_420 Depth=3
	s_wait_alu 0xfffe
	s_or_b32 exec_lo, exec_lo, s17
.LBB6_462:                              ;   in Loop: Header=BB6_420 Depth=3
	s_wait_alu 0xfffe
	s_and_not1_saveexec_b32 s16, s16
	s_cbranch_execz .LBB6_464
; %bb.463:                              ;   in Loop: Header=BB6_420 Depth=3
	s_wait_storecnt 0x0
	s_wait_loadcnt_dscnt 0x0
	global_inv scope:SCOPE_DEV
	s_barrier_signal -1
	s_barrier_wait -1
.LBB6_464:                              ;   in Loop: Header=BB6_420 Depth=3
	s_wait_alu 0xfffe
	s_or_b32 exec_lo, exec_lo, s16
.LBB6_465:                              ;   in Loop: Header=BB6_420 Depth=3
	s_wait_alu 0xfffe
	s_or_b32 exec_lo, exec_lo, s13
                                        ; implicit-def: $vgpr3
	s_and_saveexec_b32 s13, s94
	s_wait_alu 0xfffe
	s_xor_b32 s13, exec_lo, s13
	s_cbranch_execz .LBB6_477
; %bb.466:                              ;   in Loop: Header=BB6_420 Depth=3
	s_and_saveexec_b32 s16, s3
	s_wait_alu 0xfffe
	s_xor_b32 s16, exec_lo, s16
	s_cbranch_execz .LBB6_482
; %bb.467:                              ;   in Loop: Header=BB6_420 Depth=3
	s_and_saveexec_b32 s17, s6
	s_cbranch_execz .LBB6_481
; %bb.468:                              ;   in Loop: Header=BB6_420 Depth=3
	s_mov_b32 s19, exec_lo
	s_mov_b32 s18, exec_lo
	s_wait_alu 0xfffe
	v_mbcnt_lo_u32_b32 v3, s19, 0
	;;#ASMSTART
	s_waitcnt lgkmcnt(0) vmcnt(0)
	;;#ASMEND
	s_delay_alu instid0(VALU_DEP_1)
	v_cmpx_eq_u32_e32 0, v3
	s_cbranch_execz .LBB6_470
; %bb.469:                              ;   in Loop: Header=BB6_420 Depth=3
	s_bcnt1_i32_b32 s19, s19
	s_wait_alu 0xfffe
	v_dual_mov_b32 v9, v2 :: v_dual_mov_b32 v8, s19
	s_wait_storecnt 0x0
	s_wait_loadcnt_dscnt 0x0
	ds_add_u64 v0, v[8:9]
	s_trap 2
.LBB6_470:                              ;   in Loop: Header=BB6_420 Depth=3
	s_or_b32 exec_lo, exec_lo, s18
	s_trap 2
	ds_load_b64 v[8:9], v0
	s_wait_dscnt 0x0
	global_inv scope:SCOPE_SE
	v_add_co_u32 v70, vcc_lo, v70, v135
	s_wait_alu 0xfffd
	v_add_co_ci_u32_e64 v71, null, 0, v71, vcc_lo
	s_mov_b32 s18, exec_lo
	v_cmpx_lt_u64_e64 v[8:9], v[70:71]
	s_cbranch_execz .LBB6_480
; %bb.471:                              ;   in Loop: Header=BB6_420 Depth=3
	s_mov_b32 s19, 0
	s_mov_b32 s22, 0
                                        ; implicit-def: $sgpr20
                                        ; implicit-def: $sgpr21
	s_branch .LBB6_473
.LBB6_472:                              ;   in Loop: Header=BB6_473 Depth=4
	s_wait_alu 0xfffe
	s_or_b32 exec_lo, exec_lo, s24
	s_delay_alu instid0(SALU_CYCLE_1)
	s_and_b32 s23, exec_lo, s25
	s_wait_alu 0xfffe
	s_or_b32 s19, s23, s19
	s_and_not1_b32 s20, s20, exec_lo
	s_and_b32 s23, s21, exec_lo
	s_wait_alu 0xfffe
	s_or_b32 s20, s20, s23
	s_and_not1_b32 exec_lo, exec_lo, s19
	s_cbranch_execz .LBB6_478
.LBB6_473:                              ;   Parent Loop BB6_47 Depth=1
                                        ;     Parent Loop BB6_271 Depth=2
                                        ;       Parent Loop BB6_420 Depth=3
                                        ; =>      This Inner Loop Header: Depth=4
	s_wait_alu 0xfffe
	s_add_co_i32 s22, s22, 1
	s_wait_alu 0xfffe
	s_cmp_lg_u32 s22, 0x2710
	s_cselect_b32 s23, -1, 0
	s_wait_alu 0xfffe
	s_and_b32 vcc_lo, exec_lo, s23
	s_wait_alu 0xfffe
	s_cbranch_vccz .LBB6_475
; %bb.474:                              ;   in Loop: Header=BB6_473 Depth=4
	s_mov_b32 s25, -1
	s_or_b32 s21, s21, exec_lo
	s_and_saveexec_b32 s24, s23
	s_cbranch_execz .LBB6_472
	s_branch .LBB6_476
.LBB6_475:                              ;   in Loop: Header=BB6_473 Depth=4
	s_trap 2
	ds_load_b64 v[8:9], v0
	s_and_not1_b32 s23, s23, exec_lo
	s_mov_b32 s22, 0
	s_wait_storecnt 0x0
	s_wait_loadcnt_dscnt 0x0
	flat_load_b32 v3, v[8:9] scope:SCOPE_SYS
	s_wait_loadcnt_dscnt 0x0
	global_inv scope:SCOPE_SYS
	v_cmp_eq_u32_e32 vcc_lo, 0, v3
	s_and_b32 s24, vcc_lo, exec_lo
	s_wait_alu 0xfffe
	s_or_b32 s23, s23, s24
	s_mov_b32 s25, -1
	s_or_b32 s21, s21, exec_lo
	s_wait_alu 0xfffe
	s_and_saveexec_b32 s24, s23
	s_cbranch_execz .LBB6_472
.LBB6_476:                              ;   in Loop: Header=BB6_473 Depth=4
	s_sleep 1
	s_trap 2
	ds_load_b64 v[8:9], v0
	s_wait_dscnt 0x0
	global_inv scope:SCOPE_SE
	s_wait_alu 0xfffe
	s_and_not1_b32 s21, s21, exec_lo
	v_cmp_ge_u64_e32 vcc_lo, v[8:9], v[70:71]
	s_or_not1_b32 s25, vcc_lo, exec_lo
	s_branch .LBB6_472
.LBB6_477:                              ;   in Loop: Header=BB6_420 Depth=3
	s_wait_alu 0xfffe
	s_and_not1_saveexec_b32 s16, s13
	s_cbranch_execnz .LBB6_485
	s_branch .LBB6_488
.LBB6_478:                              ;   in Loop: Header=BB6_420 Depth=3
	s_or_b32 exec_lo, exec_lo, s19
	s_wait_alu 0xfffe
	s_and_saveexec_b32 s19, s20
	s_wait_alu 0xfffe
	s_xor_b32 s19, exec_lo, s19
	s_cbranch_execz .LBB6_480
; %bb.479:                              ;   in Loop: Header=BB6_420 Depth=3
	ds_store_b32 v0, v145
	s_trap 2
.LBB6_480:                              ;   in Loop: Header=BB6_420 Depth=3
	s_wait_alu 0xfffe
	s_or_b32 exec_lo, exec_lo, s18
	;;#ASMSTART
	s_wakeup
	;;#ASMEND
.LBB6_481:                              ;   in Loop: Header=BB6_420 Depth=3
	s_wait_alu 0xfffe
	s_or_b32 exec_lo, exec_lo, s17
.LBB6_482:                              ;   in Loop: Header=BB6_420 Depth=3
	s_wait_alu 0xfffe
	s_and_not1_saveexec_b32 s16, s16
	s_cbranch_execz .LBB6_484
; %bb.483:                              ;   in Loop: Header=BB6_420 Depth=3
	;;#ASMSTART
	s_waitcnt lgkmcnt(0) vmcnt(0)
	;;#ASMEND
	s_barrier_signal -1
	s_barrier_wait -1
.LBB6_484:                              ;   in Loop: Header=BB6_420 Depth=3
	s_wait_alu 0xfffe
	s_or_b32 exec_lo, exec_lo, s16
	v_and_b32_e32 v3, 16, v30
	s_and_not1_saveexec_b32 s16, s13
	s_cbranch_execz .LBB6_488
.LBB6_485:                              ;   in Loop: Header=BB6_420 Depth=3
	s_trap 2
	ds_load_b32 v3, v0
	v_cmp_lt_i32_e32 vcc_lo, 0, v100
	s_wait_dscnt 0x0
	v_readfirstlane_b32 s13, v3
	v_and_b32_e32 v3, 16, v30
	s_cmp_eq_u32 s13, 0
	s_delay_alu instid0(VALU_DEP_1)
	v_cmp_ne_u32_e64 s13, 0, v3
	s_cselect_b32 s17, -1, 0
	v_and_b32_e32 v3, 16, v30
	s_wait_alu 0xfffe
	s_and_b32 s17, vcc_lo, s17
	s_wait_alu 0xfffe
	s_and_b32 s17, s13, s17
	s_wait_alu 0xfffe
	s_and_saveexec_b32 s13, s17
	s_cbranch_execz .LBB6_487
; %bb.486:                              ;   in Loop: Header=BB6_420 Depth=3
	v_mov_b32_e32 v3, 1
	global_wb scope:SCOPE_SYS
	s_wait_loadcnt 0x0
	s_wait_storecnt 0x0
	global_inv scope:SCOPE_SYS
.LBB6_487:                              ;   in Loop: Header=BB6_420 Depth=3
	s_wait_alu 0xfffe
	s_or_b32 exec_lo, exec_lo, s13
.LBB6_488:                              ;   in Loop: Header=BB6_420 Depth=3
	s_wait_alu 0xfffe
	s_or_b32 exec_lo, exec_lo, s16
	v_cmp_ne_u32_e32 vcc_lo, 0, v3
	s_xor_b32 s13, s4, -1
	s_wait_alu 0xfffe
	s_and_b32 s16, vcc_lo, s13
	s_wait_alu 0xfffe
	s_and_saveexec_b32 s13, s16
	s_cbranch_execz .LBB6_490
; %bb.489:                              ;   in Loop: Header=BB6_420 Depth=3
	global_wb scope:SCOPE_SYS
	s_wait_storecnt 0x0
	s_wait_loadcnt_dscnt 0x0
	flat_store_b32 v[68:69], v145 scope:SCOPE_SYS
.LBB6_490:                              ;   in Loop: Header=BB6_420 Depth=3
	s_wait_alu 0xfffe
	s_or_b32 exec_lo, exec_lo, s13
	v_and_b32_e32 v3, 48, v30
	s_mov_b32 s13, exec_lo
	s_delay_alu instid0(VALU_DEP_1)
	v_cmpx_ne_u32_e32 0, v3
	s_cbranch_execz .LBB6_419
; %bb.491:                              ;   in Loop: Header=BB6_420 Depth=3
	v_add_co_u32 v96, vcc_lo, v96, 2
	s_wait_alu 0xfffd
	v_add_co_ci_u32_e64 v97, null, 0, v97, vcc_lo
	global_wb scope:SCOPE_SYS
	s_wait_storecnt 0x0
	s_wait_loadcnt_dscnt 0x0
	flat_store_b64 v[64:65], v[96:97] scope:SCOPE_SYS
	s_branch .LBB6_419
.LBB6_492:                              ;   in Loop: Header=BB6_47 Depth=1
	v_mul_lo_u32 v3, v87, s72
	v_mul_lo_u32 v10, v86, s73
	v_mad_co_u64_u32 v[8:9], null, v86, s72, 0
	v_mov_b32_e32 v103, 0
	s_delay_alu instid0(VALU_DEP_2) | instskip(NEXT) | instid1(VALU_DEP_3)
	v_add3_u32 v9, v9, v10, v3
	v_sub_co_u32 v10, vcc_lo, v98, v8
	s_wait_alu 0xfffd
	s_delay_alu instid0(VALU_DEP_2) | instskip(NEXT) | instid1(VALU_DEP_1)
	v_sub_co_ci_u32_e64 v11, null, v99, v9, vcc_lo
	v_cmp_lt_i64_e32 vcc_lo, v[86:87], v[10:11]
	s_wait_alu 0xfffd
	v_cndmask_b32_e32 v11, v10, v86, vcc_lo
	s_delay_alu instid0(VALU_DEP_1) | instskip(NEXT) | instid1(VALU_DEP_1)
	v_max_i32_e32 v3, 0, v11
	v_add_nc_u32_e32 v10, 31, v3
	v_cmp_lt_i32_e32 vcc_lo, 0, v11
	s_delay_alu instid0(VALU_DEP_2) | instskip(SKIP_1) | instid1(VALU_DEP_1)
	v_lshrrev_b32_e32 v10, 1, v10
	s_and_b32 s13, vcc_hi, vcc_lo
	v_and_b32_e32 v12, 0x3ffffff0, v10
	v_mov_b32_e32 v10, 0
	s_delay_alu instid0(VALU_DEP_2)
	v_max_i32_e32 v100, s92, v12
	s_wait_alu 0xfffe
	s_and_saveexec_b32 s77, s13
	s_cbranch_execz .LBB6_673
; %bb.493:                              ;   in Loop: Header=BB6_47 Depth=1
	v_add_co_u32 v40, vcc_lo, v8, v182
	s_wait_alu 0xfffd
	v_add_co_ci_u32_e64 v41, null, v9, v183, vcc_lo
	v_mov_b32_e32 v103, 0
	s_mov_b32 s38, 1
	s_mov_b32 s37, -1
	s_mov_b32 s36, 0
	s_branch .LBB6_495
.LBB6_494:                              ;   in Loop: Header=BB6_495 Depth=2
	s_wait_alu 0xfffe
	s_or_b32 exec_lo, exec_lo, s13
	v_dual_mov_b32 v10, s38 :: v_dual_add_nc_u32 v103, v100, v103
	s_xor_b32 s13, s37, -1
	s_mov_b32 s37, 0
	s_mov_b32 s38, 2
	s_delay_alu instid0(VALU_DEP_1)
	v_cmp_ge_i32_e32 vcc_lo, v103, v3
	s_wait_alu 0xfffe
	s_or_b32 s13, s13, vcc_lo
	s_wait_alu 0xfffe
	s_and_b32 s13, exec_lo, s13
	s_wait_alu 0xfffe
	s_or_b32 s36, s13, s36
	s_wait_alu 0xfffe
	s_and_not1_b32 exec_lo, exec_lo, s36
	s_cbranch_execz .LBB6_672
.LBB6_495:                              ;   Parent Loop BB6_47 Depth=1
                                        ; =>  This Loop Header: Depth=2
                                        ;       Child Loop BB6_503 Depth 3
                                        ;       Child Loop BB6_531 Depth 3
	;; [unrolled: 1-line block ×5, first 2 shown]
                                        ;         Child Loop BB6_583 Depth 4
                                        ;       Child Loop BB6_592 Depth 3
                                        ;       Child Loop BB6_597 Depth 3
                                        ;         Child Loop BB6_598 Depth 4
                                        ;       Child Loop BB6_610 Depth 3
                                        ;       Child Loop BB6_615 Depth 3
	;; [unrolled: 1-line block ×6, first 2 shown]
	s_and_saveexec_b32 s14, s0
	s_cbranch_execz .LBB6_497
; %bb.496:                              ;   in Loop: Header=BB6_495 Depth=2
	s_trap 2
	ds_load_2addr_b64 v[8:11], v0 offset1:1
	ds_load_b64 v[12:13], v0
	v_ashrrev_i32_e32 v14, 31, v103
	s_wait_dscnt 0x1
	v_add_co_u32 v8, vcc_lo, v8, v40
	s_wait_alu 0xfffd
	v_add_co_ci_u32_e64 v9, null, v9, v41, vcc_lo
	v_add_co_u32 v10, vcc_lo, v10, v40
	s_wait_alu 0xfffd
	v_add_co_ci_u32_e64 v11, null, v11, v41, vcc_lo
	s_wait_dscnt 0x0
	v_add_co_u32 v15, vcc_lo, v12, v40
	s_wait_alu 0xfffd
	v_add_co_ci_u32_e64 v16, null, v13, v41, vcc_lo
	v_add_co_u32 v8, vcc_lo, v8, v103
	s_wait_alu 0xfffd
	v_add_co_ci_u32_e64 v9, null, v9, v14, vcc_lo
	;; [unrolled: 3-line block ×3, first 2 shown]
	v_cmp_ne_u64_e32 vcc_lo, 0, v[12:13]
	v_add_co_u32 v10, s13, v10, v103
	s_wait_alu 0xf1ff
	v_add_co_ci_u32_e64 v11, null, v11, v14, s13
	s_wait_alu 0xfffd
	v_dual_cndmask_b32 v13, 0, v16 :: v_dual_cndmask_b32 v12, 0, v15
	ds_store_b64 v0, v[8:9]
	ds_store_b64 v0, v[10:11]
	;; [unrolled: 1-line block ×3, first 2 shown]
.LBB6_497:                              ;   in Loop: Header=BB6_495 Depth=2
	s_wait_alu 0xfffe
	s_or_b32 exec_lo, exec_lo, s14
	v_sub_nc_u32_e32 v8, v3, v103
	v_and_b32_e32 v9, 12, v30
	s_mov_b32 s14, exec_lo
	s_delay_alu instid0(VALU_DEP_2) | instskip(NEXT) | instid1(VALU_DEP_2)
	v_min_i32_e32 v100, v100, v8
	v_cmpx_ne_u32_e32 0, v9
	s_cbranch_execz .LBB6_523
; %bb.498:                              ;   in Loop: Header=BB6_495 Depth=2
	v_and_b32_e32 v16, 8, v30
	s_mov_b32 s15, exec_lo
	s_delay_alu instid0(VALU_DEP_1)
	v_add_co_u32 v10, vcc_lo, v80, v16
	s_wait_alu 0xfffd
	v_add_co_ci_u32_e64 v11, null, 0, v81, vcc_lo
	v_add_co_u32 v8, vcc_lo, v96, 2
	s_wait_alu 0xfffd
	v_add_co_ci_u32_e64 v9, null, 0, v97, vcc_lo
	s_delay_alu instid0(VALU_DEP_1)
	v_cmpx_lt_u64_e64 v[10:11], v[8:9]
	s_cbranch_execz .LBB6_510
; %bb.499:                              ;   in Loop: Header=BB6_495 Depth=2
	v_and_b32_e32 v10, 64, v30
	s_mov_b32 s16, 0
	s_mov_b32 s20, 0
                                        ; implicit-def: $sgpr17
                                        ; implicit-def: $sgpr18
                                        ; implicit-def: $sgpr19
	s_delay_alu instid0(VALU_DEP_1)
	v_cmp_eq_u32_e32 vcc_lo, 0, v10
	s_branch .LBB6_503
.LBB6_500:                              ;   in Loop: Header=BB6_503 Depth=3
	v_add_co_u32 v11, s13, v80, v16
	s_wait_alu 0xf1ff
	v_add_co_ci_u32_e64 v12, null, 0, v81, s13
	s_or_b32 s23, s23, exec_lo
	v_cmp_ge_u64_e64 s13, v[11:12], v[8:9]
	s_or_not1_b32 s22, s13, exec_lo
.LBB6_501:                              ;   in Loop: Header=BB6_503 Depth=3
	s_wait_alu 0xfffe
	s_or_b32 exec_lo, exec_lo, s25
	s_delay_alu instid0(SALU_CYCLE_1)
	s_and_not1_b32 s13, s19, exec_lo
	s_and_b32 s19, s23, exec_lo
	s_and_not1_b32 s18, s18, exec_lo
	s_and_b32 s22, s22, exec_lo
	s_wait_alu 0xfffe
	s_or_b32 s19, s13, s19
	s_or_b32 s18, s18, s22
.LBB6_502:                              ;   in Loop: Header=BB6_503 Depth=3
	s_wait_alu 0xfffe
	s_or_b32 exec_lo, exec_lo, s21
	s_delay_alu instid0(SALU_CYCLE_1)
	s_and_b32 s13, exec_lo, s18
	s_wait_alu 0xfffe
	s_or_b32 s16, s13, s16
	s_and_not1_b32 s13, s17, exec_lo
	s_and_b32 s17, s19, exec_lo
	s_wait_alu 0xfffe
	s_or_b32 s17, s13, s17
	s_and_not1_b32 exec_lo, exec_lo, s16
	s_cbranch_execz .LBB6_507
.LBB6_503:                              ;   Parent Loop BB6_47 Depth=1
                                        ;     Parent Loop BB6_495 Depth=2
                                        ; =>    This Inner Loop Header: Depth=3
	s_sleep 1
	flat_load_b64 v[80:81], v[64:65] scope:SCOPE_SYS
	s_wait_loadcnt_dscnt 0x0
	global_inv scope:SCOPE_SYS
	s_or_b32 s19, s19, exec_lo
	s_or_b32 s18, s18, exec_lo
                                        ; implicit-def: $vgpr10
	s_and_saveexec_b32 s21, vcc_lo
	s_cbranch_execz .LBB6_502
; %bb.504:                              ;   in Loop: Header=BB6_503 Depth=3
	s_wait_alu 0xfffe
	s_cmp_lt_i32 s20, 0x270f
	s_mov_b32 s22, -1
	s_cselect_b32 s24, -1, 0
	s_cmp_gt_i32 s20, 0x270e
	s_cbranch_scc0 .LBB6_506
; %bb.505:                              ;   in Loop: Header=BB6_503 Depth=3
	s_trap 2
	ds_load_b64 v[10:11], v0
	s_wait_alu 0xfffe
	s_and_not1_b32 s20, s24, exec_lo
	s_mov_b32 s23, 0
	s_wait_storecnt 0x0
	s_wait_loadcnt_dscnt 0x0
	flat_load_b32 v10, v[10:11] scope:SCOPE_SYS
	s_wait_loadcnt_dscnt 0x0
	global_inv scope:SCOPE_SYS
	v_cmp_eq_u32_e64 s13, 0, v10
	s_and_b32 s13, s13, exec_lo
	s_wait_alu 0xfffe
	s_or_b32 s24, s20, s13
	s_mov_b32 s20, 0
	s_wait_alu 0xfffe
	s_and_saveexec_b32 s25, s24
	s_cbranch_execz .LBB6_501
	s_branch .LBB6_500
.LBB6_506:                              ;   in Loop: Header=BB6_503 Depth=3
	s_add_co_i32 s20, s20, 1
	s_mov_b32 s23, -1
                                        ; implicit-def: $vgpr10
	s_wait_alu 0xfffe
	s_and_saveexec_b32 s25, s24
	s_cbranch_execz .LBB6_501
	s_branch .LBB6_500
.LBB6_507:                              ;   in Loop: Header=BB6_495 Depth=2
	s_or_b32 exec_lo, exec_lo, s16
	s_wait_alu 0xfffe
	s_xor_b32 s13, s17, -1
	s_wait_alu 0xfffe
	s_and_saveexec_b32 s16, s13
	s_wait_alu 0xfffe
	s_xor_b32 s13, exec_lo, s16
	s_cbranch_execz .LBB6_509
; %bb.508:                              ;   in Loop: Header=BB6_495 Depth=2
	v_or_b32_e32 v30, 64, v30
	s_wait_loadcnt 0x0
	s_wait_storecnt 0x0
	ds_store_b32 v0, v10
	s_trap 2
.LBB6_509:                              ;   in Loop: Header=BB6_495 Depth=2
	s_wait_alu 0xfffe
	s_or_b32 exec_lo, exec_lo, s13
.LBB6_510:                              ;   in Loop: Header=BB6_495 Depth=2
	s_wait_alu 0xfffe
	s_or_b32 exec_lo, exec_lo, s15
	v_and_b32_e32 v10, 0x108, v30
	;;#ASMSTART
	s_wakeup
	;;#ASMEND
	s_delay_alu instid0(VALU_DEP_1)
	v_cmp_ne_u32_e32 vcc_lo, 0x108, v10
                                        ; implicit-def: $vgpr10_vgpr11
	s_and_saveexec_b32 s13, vcc_lo
	s_wait_alu 0xfffe
	s_xor_b32 s13, exec_lo, s13
; %bb.511:                              ;   in Loop: Header=BB6_495 Depth=2
	v_dual_mov_b32 v11, v2 :: v_dual_and_b32 v10, 7, v96
                                        ; implicit-def: $vgpr96_vgpr97
; %bb.512:                              ;   in Loop: Header=BB6_495 Depth=2
	s_wait_alu 0xfffe
	s_and_not1_saveexec_b32 s13, s13
	s_cbranch_execz .LBB6_514
; %bb.513:                              ;   in Loop: Header=BB6_495 Depth=2
	v_dual_mov_b32 v11, v2 :: v_dual_and_b32 v10, 7, v96
	v_ashrrev_i32_e32 v101, 31, v100
	s_delay_alu instid0(VALU_DEP_2)
	v_mad_co_u64_u32 v[12:13], null, v10, 24, v[6:7]
	flat_store_b64 v[12:13], v[100:101] offset:8
.LBB6_514:                              ;   in Loop: Header=BB6_495 Depth=2
	s_wait_alu 0xfffe
	s_or_b32 exec_lo, exec_lo, s13
	v_and_b32_e32 v12, 0x100, v30
	s_mov_b32 s13, -1
	s_delay_alu instid0(VALU_DEP_1)
	v_cmp_ne_u32_e32 vcc_lo, 0, v12
                                        ; implicit-def: $vgpr12_vgpr13
	s_and_saveexec_b32 s15, vcc_lo
	s_cbranch_execz .LBB6_518
; %bb.515:                              ;   in Loop: Header=BB6_495 Depth=2
	v_mad_co_u64_u32 v[14:15], null, v10, 24, v[6:7]
	s_delay_alu instid0(VALU_DEP_1) | instskip(NEXT) | instid1(VALU_DEP_1)
	v_mov_b32_e32 v12, v15
	v_mad_co_u64_u32 v[12:13], null, v11, 24, v[12:13]
	s_delay_alu instid0(VALU_DEP_1)
	v_mov_b32_e32 v15, v12
	flat_load_b32 v12, v[14:15]
	s_wait_loadcnt_dscnt 0x0
	v_cmp_eq_u32_e64 s13, 1, v12
	v_cmp_ne_u32_e32 vcc_lo, 1, v12
                                        ; implicit-def: $vgpr12_vgpr13
	s_wait_alu 0xfffe
	s_and_saveexec_b32 s16, s13
	s_cbranch_execz .LBB6_517
; %bb.516:                              ;   in Loop: Header=BB6_495 Depth=2
	flat_load_b32 v12, v[14:15] offset:4 scope:SCOPE_SYS
	s_wait_loadcnt_dscnt 0x0
	v_ashrrev_i32_e32 v13, 31, v12
.LBB6_517:                              ;   in Loop: Header=BB6_495 Depth=2
	s_wait_alu 0xfffe
	s_or_b32 exec_lo, exec_lo, s16
	s_delay_alu instid0(SALU_CYCLE_1)
	s_or_not1_b32 s13, vcc_lo, exec_lo
.LBB6_518:                              ;   in Loop: Header=BB6_495 Depth=2
	s_wait_alu 0xfffe
	s_or_b32 exec_lo, exec_lo, s15
	s_and_saveexec_b32 s15, s13
; %bb.519:                              ;   in Loop: Header=BB6_495 Depth=2
	v_mul_lo_u32 v11, v11, v132
	v_mul_lo_u32 v14, v10, v134
	v_mad_co_u64_u32 v[12:13], null, v10, v132, 0
	s_delay_alu instid0(VALU_DEP_1)
	v_add3_u32 v13, v13, v14, v11
; %bb.520:                              ;   in Loop: Header=BB6_495 Depth=2
	s_wait_alu 0xfffe
	s_or_b32 exec_lo, exec_lo, s15
	v_cmp_eq_u32_e32 vcc_lo, 0, v16
	v_and_b32_e32 v15, 0x2000, v30
	s_mov_b32 s13, exec_lo
	s_wait_alu 0xfffd
	v_cndmask_b32_e32 v14, 0xd0, v146, vcc_lo
	v_add_co_u32 v10, vcc_lo, v66, v12
	s_wait_alu 0xfffd
	v_add_co_ci_u32_e64 v11, null, v67, v13, vcc_lo
	s_delay_alu instid0(VALU_DEP_3)
	v_add_nc_u32_e32 v12, v0, v14
	ds_store_b64 v12, v[10:11] offset:584
	v_cmpx_ne_u32_e32 0, v15
	s_cbranch_execz .LBB6_522
; %bb.521:                              ;   in Loop: Header=BB6_495 Depth=2
	ds_load_b64 v[10:11], v0 offset:872
	s_wait_dscnt 0x0
	v_add_co_u32 v10, vcc_lo, v10, 1
	s_wait_alu 0xfffd
	v_add_co_ci_u32_e64 v11, null, 0, v11, vcc_lo
	ds_store_b64 v0, v[10:11] offset:872
.LBB6_522:                              ;   in Loop: Header=BB6_495 Depth=2
	s_wait_alu 0xfffe
	s_or_b32 exec_lo, exec_lo, s13
	v_dual_mov_b32 v97, v9 :: v_dual_mov_b32 v96, v8
.LBB6_523:                              ;   in Loop: Header=BB6_495 Depth=2
	s_wait_alu 0xfffe
	s_or_b32 exec_lo, exec_lo, s14
	s_and_saveexec_b32 s13, s2
	s_cbranch_execz .LBB6_542
; %bb.524:                              ;   in Loop: Header=BB6_495 Depth=2
	s_and_saveexec_b32 s14, s3
	s_wait_alu 0xfffe
	s_xor_b32 s14, exec_lo, s14
	s_cbranch_execz .LBB6_539
; %bb.525:                              ;   in Loop: Header=BB6_495 Depth=2
	s_and_saveexec_b32 s15, s6
	s_cbranch_execz .LBB6_538
; %bb.526:                              ;   in Loop: Header=BB6_495 Depth=2
	s_mov_b32 s17, exec_lo
	s_mov_b32 s16, exec_lo
	s_wait_alu 0xfffe
	v_mbcnt_lo_u32_b32 v8, s17, 0
	s_wait_storecnt 0x0
	s_wait_loadcnt_dscnt 0x0
	global_inv scope:SCOPE_DEV
	v_cmpx_eq_u32_e32 0, v8
	s_cbranch_execz .LBB6_528
; %bb.527:                              ;   in Loop: Header=BB6_495 Depth=2
	s_bcnt1_i32_b32 s17, s17
	s_wait_alu 0xfffe
	v_dual_mov_b32 v9, v2 :: v_dual_mov_b32 v8, s17
	s_wait_loadcnt 0x0
	ds_add_u64 v0, v[8:9]
	s_trap 2
.LBB6_528:                              ;   in Loop: Header=BB6_495 Depth=2
	s_or_b32 exec_lo, exec_lo, s16
	s_trap 2
	ds_load_b64 v[8:9], v0
	s_wait_dscnt 0x0
	global_inv scope:SCOPE_SE
	v_add_co_u32 v70, vcc_lo, v70, v135
	s_wait_alu 0xfffd
	v_add_co_ci_u32_e64 v71, null, 0, v71, vcc_lo
	s_mov_b32 s16, exec_lo
	v_cmpx_lt_u64_e64 v[8:9], v[70:71]
	s_cbranch_execz .LBB6_537
; %bb.529:                              ;   in Loop: Header=BB6_495 Depth=2
	s_mov_b32 s17, 0
	s_mov_b32 s20, 0
                                        ; implicit-def: $sgpr18
                                        ; implicit-def: $sgpr19
	s_branch .LBB6_531
.LBB6_530:                              ;   in Loop: Header=BB6_531 Depth=3
	s_wait_alu 0xfffe
	s_or_b32 exec_lo, exec_lo, s22
	s_delay_alu instid0(SALU_CYCLE_1)
	s_and_b32 s21, exec_lo, s23
	s_wait_alu 0xfffe
	s_or_b32 s17, s21, s17
	s_and_not1_b32 s18, s18, exec_lo
	s_and_b32 s21, s19, exec_lo
	s_wait_alu 0xfffe
	s_or_b32 s18, s18, s21
	s_and_not1_b32 exec_lo, exec_lo, s17
	s_cbranch_execz .LBB6_535
.LBB6_531:                              ;   Parent Loop BB6_47 Depth=1
                                        ;     Parent Loop BB6_495 Depth=2
                                        ; =>    This Inner Loop Header: Depth=3
	s_wait_alu 0xfffe
	s_add_co_i32 s20, s20, 1
	s_wait_alu 0xfffe
	s_cmp_lg_u32 s20, 0x2710
	s_cselect_b32 s21, -1, 0
	s_wait_alu 0xfffe
	s_and_b32 vcc_lo, exec_lo, s21
	s_wait_alu 0xfffe
	s_cbranch_vccz .LBB6_533
; %bb.532:                              ;   in Loop: Header=BB6_531 Depth=3
	s_mov_b32 s23, -1
	s_or_b32 s19, s19, exec_lo
	s_and_saveexec_b32 s22, s21
	s_cbranch_execz .LBB6_530
	s_branch .LBB6_534
.LBB6_533:                              ;   in Loop: Header=BB6_531 Depth=3
	s_trap 2
	ds_load_b64 v[8:9], v0
	s_and_not1_b32 s21, s21, exec_lo
	s_mov_b32 s20, 0
	s_wait_loadcnt_dscnt 0x0
	flat_load_b32 v8, v[8:9] scope:SCOPE_SYS
	s_wait_loadcnt_dscnt 0x0
	global_inv scope:SCOPE_SYS
	v_cmp_eq_u32_e32 vcc_lo, 0, v8
	s_and_b32 s22, vcc_lo, exec_lo
	s_wait_alu 0xfffe
	s_or_b32 s21, s21, s22
	s_mov_b32 s23, -1
	s_or_b32 s19, s19, exec_lo
	s_wait_alu 0xfffe
	s_and_saveexec_b32 s22, s21
	s_cbranch_execz .LBB6_530
.LBB6_534:                              ;   in Loop: Header=BB6_531 Depth=3
	s_sleep 1
	s_trap 2
	ds_load_b64 v[8:9], v0
	s_wait_dscnt 0x0
	global_inv scope:SCOPE_SE
	s_wait_alu 0xfffe
	s_and_not1_b32 s19, s19, exec_lo
	v_cmp_ge_u64_e32 vcc_lo, v[8:9], v[70:71]
	s_or_not1_b32 s23, vcc_lo, exec_lo
	s_branch .LBB6_530
.LBB6_535:                              ;   in Loop: Header=BB6_495 Depth=2
	s_or_b32 exec_lo, exec_lo, s17
	s_wait_alu 0xfffe
	s_and_saveexec_b32 s17, s18
	s_wait_alu 0xfffe
	s_xor_b32 s17, exec_lo, s17
	s_cbranch_execz .LBB6_537
; %bb.536:                              ;   in Loop: Header=BB6_495 Depth=2
	ds_store_b32 v0, v145
	s_trap 2
.LBB6_537:                              ;   in Loop: Header=BB6_495 Depth=2
	s_wait_alu 0xfffe
	s_or_b32 exec_lo, exec_lo, s16
	;;#ASMSTART
	s_wakeup
	;;#ASMEND
.LBB6_538:                              ;   in Loop: Header=BB6_495 Depth=2
	s_wait_alu 0xfffe
	s_or_b32 exec_lo, exec_lo, s15
.LBB6_539:                              ;   in Loop: Header=BB6_495 Depth=2
	s_wait_alu 0xfffe
	s_and_not1_saveexec_b32 s14, s14
	s_cbranch_execz .LBB6_541
; %bb.540:                              ;   in Loop: Header=BB6_495 Depth=2
	s_wait_storecnt 0x0
	s_wait_loadcnt_dscnt 0x0
	global_inv scope:SCOPE_DEV
	s_barrier_signal -1
	s_barrier_wait -1
.LBB6_541:                              ;   in Loop: Header=BB6_495 Depth=2
	s_wait_alu 0xfffe
	s_or_b32 exec_lo, exec_lo, s14
.LBB6_542:                              ;   in Loop: Header=BB6_495 Depth=2
	s_wait_alu 0xfffe
	s_or_b32 exec_lo, exec_lo, s13
	s_trap 2
	ds_load_b32 v8, v0
	v_and_b32_e32 v9, 0x4000, v30
	s_xor_b32 s13, s1, -1
	s_delay_alu instid0(VALU_DEP_1)
	v_cmp_ne_u32_e32 vcc_lo, 0, v9
	s_wait_alu 0xfffe
	s_and_b32 s14, s13, vcc_lo
	s_wait_alu 0xfffe
	s_and_saveexec_b32 s13, s14
	s_cbranch_execz .LBB6_561
; %bb.543:                              ;   in Loop: Header=BB6_495 Depth=2
	s_and_saveexec_b32 s14, s3
	s_wait_alu 0xfffe
	s_xor_b32 s14, exec_lo, s14
	s_cbranch_execz .LBB6_558
; %bb.544:                              ;   in Loop: Header=BB6_495 Depth=2
	s_and_saveexec_b32 s15, s6
	s_cbranch_execz .LBB6_557
; %bb.545:                              ;   in Loop: Header=BB6_495 Depth=2
	s_mov_b32 s17, exec_lo
	s_mov_b32 s16, exec_lo
	s_wait_alu 0xfffe
	v_mbcnt_lo_u32_b32 v9, s17, 0
	s_wait_storecnt 0x0
	s_wait_loadcnt_dscnt 0x0
	global_inv scope:SCOPE_DEV
	v_cmpx_eq_u32_e32 0, v9
	s_cbranch_execz .LBB6_547
; %bb.546:                              ;   in Loop: Header=BB6_495 Depth=2
	s_bcnt1_i32_b32 s17, s17
	s_wait_alu 0xfffe
	v_dual_mov_b32 v10, v2 :: v_dual_mov_b32 v9, s17
	s_wait_loadcnt 0x0
	ds_add_u64 v0, v[9:10]
	s_trap 2
.LBB6_547:                              ;   in Loop: Header=BB6_495 Depth=2
	s_or_b32 exec_lo, exec_lo, s16
	s_trap 2
	ds_load_b64 v[9:10], v0
	s_wait_dscnt 0x0
	global_inv scope:SCOPE_SE
	v_add_co_u32 v70, vcc_lo, v70, v135
	s_wait_alu 0xfffd
	v_add_co_ci_u32_e64 v71, null, 0, v71, vcc_lo
	s_mov_b32 s16, exec_lo
	v_cmpx_lt_u64_e64 v[9:10], v[70:71]
	s_cbranch_execz .LBB6_556
; %bb.548:                              ;   in Loop: Header=BB6_495 Depth=2
	s_mov_b32 s17, 0
	s_mov_b32 s20, 0
                                        ; implicit-def: $sgpr18
                                        ; implicit-def: $sgpr19
	s_branch .LBB6_550
.LBB6_549:                              ;   in Loop: Header=BB6_550 Depth=3
	s_wait_alu 0xfffe
	s_or_b32 exec_lo, exec_lo, s22
	s_delay_alu instid0(SALU_CYCLE_1)
	s_and_b32 s21, exec_lo, s23
	s_wait_alu 0xfffe
	s_or_b32 s17, s21, s17
	s_and_not1_b32 s18, s18, exec_lo
	s_and_b32 s21, s19, exec_lo
	s_wait_alu 0xfffe
	s_or_b32 s18, s18, s21
	s_and_not1_b32 exec_lo, exec_lo, s17
	s_cbranch_execz .LBB6_554
.LBB6_550:                              ;   Parent Loop BB6_47 Depth=1
                                        ;     Parent Loop BB6_495 Depth=2
                                        ; =>    This Inner Loop Header: Depth=3
	s_wait_alu 0xfffe
	s_add_co_i32 s20, s20, 1
	s_wait_alu 0xfffe
	s_cmp_lg_u32 s20, 0x2710
	s_cselect_b32 s21, -1, 0
	s_wait_alu 0xfffe
	s_and_b32 vcc_lo, exec_lo, s21
	s_wait_alu 0xfffe
	s_cbranch_vccz .LBB6_552
; %bb.551:                              ;   in Loop: Header=BB6_550 Depth=3
	s_mov_b32 s23, -1
	s_or_b32 s19, s19, exec_lo
	s_and_saveexec_b32 s22, s21
	s_cbranch_execz .LBB6_549
	s_branch .LBB6_553
.LBB6_552:                              ;   in Loop: Header=BB6_550 Depth=3
	s_trap 2
	ds_load_b64 v[9:10], v0
	s_and_not1_b32 s21, s21, exec_lo
	s_mov_b32 s20, 0
	s_wait_loadcnt_dscnt 0x0
	flat_load_b32 v9, v[9:10] scope:SCOPE_SYS
	s_wait_loadcnt_dscnt 0x0
	global_inv scope:SCOPE_SYS
	v_cmp_eq_u32_e32 vcc_lo, 0, v9
	s_and_b32 s22, vcc_lo, exec_lo
	s_wait_alu 0xfffe
	s_or_b32 s21, s21, s22
	s_mov_b32 s23, -1
	s_or_b32 s19, s19, exec_lo
	s_wait_alu 0xfffe
	s_and_saveexec_b32 s22, s21
	s_cbranch_execz .LBB6_549
.LBB6_553:                              ;   in Loop: Header=BB6_550 Depth=3
	s_sleep 1
	s_trap 2
	ds_load_b64 v[9:10], v0
	s_wait_dscnt 0x0
	global_inv scope:SCOPE_SE
	s_wait_alu 0xfffe
	s_and_not1_b32 s19, s19, exec_lo
	v_cmp_ge_u64_e32 vcc_lo, v[9:10], v[70:71]
	s_or_not1_b32 s23, vcc_lo, exec_lo
	s_branch .LBB6_549
.LBB6_554:                              ;   in Loop: Header=BB6_495 Depth=2
	s_or_b32 exec_lo, exec_lo, s17
	s_wait_alu 0xfffe
	s_and_saveexec_b32 s17, s18
	s_wait_alu 0xfffe
	s_xor_b32 s17, exec_lo, s17
	s_cbranch_execz .LBB6_556
; %bb.555:                              ;   in Loop: Header=BB6_495 Depth=2
	ds_store_b32 v0, v145
	s_trap 2
.LBB6_556:                              ;   in Loop: Header=BB6_495 Depth=2
	s_wait_alu 0xfffe
	s_or_b32 exec_lo, exec_lo, s16
	;;#ASMSTART
	s_wakeup
	;;#ASMEND
.LBB6_557:                              ;   in Loop: Header=BB6_495 Depth=2
	s_wait_alu 0xfffe
	s_or_b32 exec_lo, exec_lo, s15
.LBB6_558:                              ;   in Loop: Header=BB6_495 Depth=2
	s_wait_alu 0xfffe
	s_and_not1_saveexec_b32 s14, s14
	s_cbranch_execz .LBB6_560
; %bb.559:                              ;   in Loop: Header=BB6_495 Depth=2
	s_wait_storecnt 0x0
	s_wait_loadcnt_dscnt 0x0
	global_inv scope:SCOPE_DEV
	s_barrier_signal -1
	s_barrier_wait -1
.LBB6_560:                              ;   in Loop: Header=BB6_495 Depth=2
	s_wait_alu 0xfffe
	s_or_b32 exec_lo, exec_lo, s14
.LBB6_561:                              ;   in Loop: Header=BB6_495 Depth=2
	s_wait_alu 0xfffe
	s_or_b32 exec_lo, exec_lo, s13
	s_trap 2
	ds_load_b64 v[101:102], v0
	s_wait_dscnt 0x0
	v_cmp_eq_u64_e32 vcc_lo, 0, v[101:102]
	s_cbranch_vccnz .LBB6_570
; %bb.562:                              ;   in Loop: Header=BB6_495 Depth=2
	s_trap 2
	ds_load_b64 v[112:113], v0
	s_wait_dscnt 0x0
	v_cmp_eq_u64_e32 vcc_lo, 0, v[112:113]
	s_cbranch_vccnz .LBB6_570
; %bb.563:                              ;   in Loop: Header=BB6_495 Depth=2
	s_trap 2
	ds_load_b64 v[114:115], v0
	v_cmp_eq_u32_e64 s13, 0, v8
	s_wait_alu 0xf1ff
	s_delay_alu instid0(VALU_DEP_1)
	v_cndmask_b32_e64 v42, 0, v100, s13
	s_mov_b32 s13, -1
	s_wait_dscnt 0x0
	v_cmp_ne_u64_e32 vcc_lo, 0, v[114:115]
	s_cbranch_vccz .LBB6_601
; %bb.564:                              ;   in Loop: Header=BB6_495 Depth=2
	s_and_saveexec_b32 s14, s12
	s_cbranch_execz .LBB6_566
; %bb.565:                              ;   in Loop: Header=BB6_495 Depth=2
	ds_load_b32 v8, v0 offset:720
	s_wait_dscnt 0x0
	v_and_b32_e32 v8, 15, v8
	s_delay_alu instid0(VALU_DEP_1)
	v_cmp_eq_u32_e32 vcc_lo, 0, v8
	s_or_not1_b32 s13, vcc_lo, exec_lo
.LBB6_566:                              ;   in Loop: Header=BB6_495 Depth=2
	s_wait_alu 0xfffe
	s_or_b32 exec_lo, exec_lo, s14
	s_and_saveexec_b32 s14, s12
	s_cbranch_execz .LBB6_568
; %bb.567:                              ;   in Loop: Header=BB6_495 Depth=2
	ds_load_b32 v8, v0 offset:784
	s_wait_dscnt 0x0
	v_and_b32_e32 v8, 15, v8
	s_delay_alu instid0(VALU_DEP_1)
	v_cmp_eq_u32_e32 vcc_lo, 0, v8
	s_and_b32 s15, s13, vcc_lo
	s_and_not1_b32 s13, s13, exec_lo
	s_wait_alu 0xfffe
	s_and_b32 s15, s15, exec_lo
	s_wait_alu 0xfffe
	s_or_b32 s13, s13, s15
.LBB6_568:                              ;   in Loop: Header=BB6_495 Depth=2
	s_wait_alu 0xfffe
	s_or_b32 exec_lo, exec_lo, s14
	s_xor_b32 s13, s13, -1
	v_dual_mov_b32 v16, 0 :: v_dual_mov_b32 v17, v42
	s_wait_alu 0xfffe
	v_cndmask_b32_e64 v8, 0, 1, s13
	v_mov_b32_e32 v18, v0
	s_mov_b32 s13, -1
	s_delay_alu instid0(VALU_DEP_2)
	v_cmp_ne_u32_e32 vcc_lo, 0, v8
	v_mov_b32_e32 v8, v163
	s_cbranch_vccz .LBB6_575
; %bb.569:                              ;   in Loop: Header=BB6_495 Depth=2
	s_wait_alu 0xfffe
	s_and_saveexec_b32 s39, s13
	s_cbranch_execnz .LBB6_590
	s_branch .LBB6_600
.LBB6_570:                              ;   in Loop: Header=BB6_495 Depth=2
	s_mov_b32 s13, 0
	s_and_saveexec_b32 s14, s2
	s_cbranch_execnz .LBB6_631
.LBB6_571:                              ;   in Loop: Header=BB6_495 Depth=2
	s_wait_alu 0xfffe
	s_or_b32 exec_lo, exec_lo, s14
                                        ; implicit-def: $vgpr8
	s_and_saveexec_b32 s14, s10
	s_wait_alu 0xfffe
	s_xor_b32 s14, exec_lo, s14
	s_cbranch_execz .LBB6_649
.LBB6_572:                              ;   in Loop: Header=BB6_495 Depth=2
	v_and_b32_e32 v8, 16, v30
	s_delay_alu instid0(VALU_DEP_1)
	v_cmp_ne_u32_e32 vcc_lo, 0, v8
	v_and_b32_e32 v8, 16, v30
	s_and_b32 s15, vcc_lo, s13
	s_wait_alu 0xfffe
	s_and_saveexec_b32 s13, s15
	s_cbranch_execz .LBB6_574
; %bb.573:                              ;   in Loop: Header=BB6_495 Depth=2
	v_mov_b32_e32 v8, 1
	global_wb scope:SCOPE_SYS
	s_wait_storecnt 0x0
	s_wait_loadcnt_dscnt 0x0
	global_inv scope:SCOPE_SYS
.LBB6_574:                              ;   in Loop: Header=BB6_495 Depth=2
	s_wait_alu 0xfffe
	s_or_b32 exec_lo, exec_lo, s13
	s_and_not1_saveexec_b32 s13, s14
	s_cbranch_execz .LBB6_668
	s_branch .LBB6_650
.LBB6_575:                              ;   in Loop: Header=BB6_495 Depth=2
	v_ashrrev_i32_e32 v8, 31, v42
	s_mov_b32 s13, exec_lo
	s_delay_alu instid0(VALU_DEP_1) | instskip(NEXT) | instid1(VALU_DEP_1)
	v_lshrrev_b32_e32 v8, 21, v8
	v_add_nc_u32_e32 v8, v42, v8
	s_delay_alu instid0(VALU_DEP_1) | instskip(NEXT) | instid1(VALU_DEP_1)
	v_ashrrev_i32_e32 v44, 11, v8
	v_sub_nc_u32_e32 v43, v44, v163
	s_delay_alu instid0(VALU_DEP_1)
	v_cmpx_lt_i32_e32 0, v43
	s_cbranch_execz .LBB6_579
; %bb.576:                              ;   in Loop: Header=BB6_495 Depth=2
	s_trap 2
	ds_load_b64 v[8:9], v0
	v_add_co_u32 v116, vcc_lo, v112, v179
	s_wait_alu 0xfffd
	v_add_co_ci_u32_e64 v117, null, v113, v181, vcc_lo
	v_add_co_u32 v118, vcc_lo, v114, v179
	s_wait_alu 0xfffd
	v_add_co_ci_u32_e64 v119, null, v115, v181, vcc_lo
	v_add_co_u32 v128, vcc_lo, v101, v179
	s_wait_alu 0xfffd
	v_add_co_ci_u32_e64 v129, null, v102, v181, vcc_lo
	s_mov_b32 s14, 0
	s_wait_dscnt 0x0
	v_add_co_u32 v130, vcc_lo, v8, v179
	s_wait_alu 0xfffd
	v_add_co_ci_u32_e64 v131, null, v9, v181, vcc_lo
.LBB6_577:                              ;   Parent Loop BB6_47 Depth=1
                                        ;     Parent Loop BB6_495 Depth=2
                                        ; =>    This Inner Loop Header: Depth=3
	s_clause 0x3
	global_load_b128 v[48:51], v[128:129], off th:TH_LOAD_NT
	global_load_b128 v[36:39], v[128:129], off offset:512 th:TH_LOAD_NT
	global_load_b128 v[32:35], v[128:129], off offset:1024 th:TH_LOAD_NT
	;; [unrolled: 1-line block ×3, first 2 shown]
	s_clause 0x3
	global_load_b128 v[8:11], v[130:131], off th:TH_LOAD_NT
	global_load_b128 v[12:15], v[130:131], off offset:512 th:TH_LOAD_NT
	global_load_b128 v[24:27], v[130:131], off offset:1024 th:TH_LOAD_NT
	;; [unrolled: 1-line block ×3, first 2 shown]
	v_sub_nc_u32_e32 v43, v43, v135
	s_wait_loadcnt 0x7
	v_and_b32_e32 v45, 0xff, v48
	s_wait_loadcnt 0x3
	v_bfe_u32 v47, v8, 8, 8
	s_delay_alu instid0(VALU_DEP_2) | instskip(SKIP_1) | instid1(VALU_DEP_3)
	v_cvt_f32_bf8_e32 v45, v45
	v_lshrrev_b32_e32 v56, 24, v8
	v_cvt_f32_bf8_e32 v47, v47
	v_and_b32_e32 v46, 0xff, v8
	v_bfe_u32 v8, v8, 16, 8
	s_delay_alu instid0(VALU_DEP_2) | instskip(NEXT) | instid1(VALU_DEP_2)
	v_cvt_f32_bf8_e32 v46, v46
	v_cvt_f32_bf8_e32 v8, v8
	s_delay_alu instid0(VALU_DEP_2) | instskip(NEXT) | instid1(VALU_DEP_1)
	v_mul_f32_e32 v45, v45, v46
	v_cmp_nlg_f32_e64 vcc_lo, 0x7f800000, |v45|
	v_med3_num_f32 v46, v45, s89, 0xc7600000
	s_wait_alu 0xfffd
	s_delay_alu instid0(VALU_DEP_1) | instskip(NEXT) | instid1(VALU_DEP_1)
	v_dual_cndmask_b32 v45, v46, v45 :: v_dual_mov_b32 v46, 0
	v_cvt_pk_bf8_f32 v46, v45, v45
	v_bfe_u32 v45, v48, 8, 8
	s_delay_alu instid0(VALU_DEP_1) | instskip(NEXT) | instid1(VALU_DEP_1)
	v_cvt_f32_bf8_e32 v45, v45
	v_mul_f32_e32 v45, v45, v47
	s_delay_alu instid0(VALU_DEP_1) | instskip(SKIP_2) | instid1(VALU_DEP_1)
	v_cmp_nlg_f32_e64 vcc_lo, 0x7f800000, |v45|
	v_med3_num_f32 v47, v45, s89, 0xc7600000
	s_wait_alu 0xfffd
	v_cndmask_b32_e32 v45, v47, v45, vcc_lo
	v_mov_b32_e32 v47, 0
	s_delay_alu instid0(VALU_DEP_1) | instskip(NEXT) | instid1(VALU_DEP_1)
	v_cvt_pk_bf8_f32 v47, v45, v45
	v_lshlrev_b32_e32 v45, 8, v47
	v_lshrrev_b32_e32 v47, 24, v48
	v_bfe_u32 v48, v48, 16, 8
	s_delay_alu instid0(VALU_DEP_1) | instskip(NEXT) | instid1(VALU_DEP_1)
	v_cvt_f32_bf8_e32 v48, v48
	v_mul_f32_e32 v8, v48, v8
	s_delay_alu instid0(VALU_DEP_1) | instskip(SKIP_2) | instid1(VALU_DEP_1)
	v_cmp_nlg_f32_e64 vcc_lo, 0x7f800000, |v8|
	v_med3_num_f32 v48, v8, s89, 0xc7600000
	s_wait_alu 0xfffd
	v_cndmask_b32_e32 v8, v48, v8, vcc_lo
	v_mov_b32_e32 v48, 0
	s_delay_alu instid0(VALU_DEP_1) | instskip(NEXT) | instid1(VALU_DEP_1)
	v_cvt_pk_bf8_f32 v48, v8, v8
	v_and_b32_e32 v8, 0xff, v48
	v_cvt_f32_bf8_e32 v48, v47
	v_cvt_f32_bf8_e32 v47, v56
	s_delay_alu instid0(VALU_DEP_3) | instskip(NEXT) | instid1(VALU_DEP_2)
	v_lshlrev_b32_e32 v8, 16, v8
	v_mul_f32_e32 v48, v48, v47
	s_delay_alu instid0(VALU_DEP_1) | instskip(SKIP_2) | instid1(VALU_DEP_1)
	v_cmp_nlg_f32_e64 vcc_lo, 0x7f800000, |v48|
	v_med3_num_f32 v47, v48, s89, 0xc7600000
	s_wait_alu 0xfffd
	v_dual_cndmask_b32 v48, v47, v48 :: v_dual_mov_b32 v47, 0
	v_perm_b32 v45, v45, v46, 0xc0c0500
	v_bfe_u32 v46, v9, 8, 8
	s_delay_alu instid0(VALU_DEP_3) | instskip(NEXT) | instid1(VALU_DEP_2)
	v_cvt_pk_bf8_f32 v47, v48, v48
	v_cvt_f32_bf8_e32 v46, v46
	s_delay_alu instid0(VALU_DEP_2) | instskip(SKIP_1) | instid1(VALU_DEP_2)
	v_lshlrev_b32_e32 v48, 24, v47
	v_lshrrev_b32_e32 v47, 24, v9
	v_or3_b32 v8, v48, v8, v45
	v_and_b32_e32 v48, 0xff, v49
	v_and_b32_e32 v45, 0xff, v9
	v_bfe_u32 v9, v9, 16, 8
	s_delay_alu instid0(VALU_DEP_3) | instskip(NEXT) | instid1(VALU_DEP_3)
	v_cvt_f32_bf8_e32 v48, v48
	v_cvt_f32_bf8_e32 v45, v45
	s_delay_alu instid0(VALU_DEP_3) | instskip(NEXT) | instid1(VALU_DEP_2)
	v_cvt_f32_bf8_e32 v9, v9
	v_mul_f32_e32 v48, v48, v45
	s_delay_alu instid0(VALU_DEP_1) | instskip(SKIP_2) | instid1(VALU_DEP_1)
	v_cmp_nlg_f32_e64 vcc_lo, 0x7f800000, |v48|
	v_med3_num_f32 v45, v48, s89, 0xc7600000
	s_wait_alu 0xfffd
	v_dual_cndmask_b32 v48, v45, v48 :: v_dual_mov_b32 v45, 0
	s_delay_alu instid0(VALU_DEP_1) | instskip(SKIP_1) | instid1(VALU_DEP_1)
	v_cvt_pk_bf8_f32 v45, v48, v48
	v_bfe_u32 v48, v49, 8, 8
	v_cvt_f32_bf8_e32 v48, v48
	s_delay_alu instid0(VALU_DEP_1) | instskip(NEXT) | instid1(VALU_DEP_1)
	v_mul_f32_e32 v48, v48, v46
	v_cmp_nlg_f32_e64 vcc_lo, 0x7f800000, |v48|
	v_med3_num_f32 v46, v48, s89, 0xc7600000
	s_wait_alu 0xfffd
	s_delay_alu instid0(VALU_DEP_1) | instskip(SKIP_1) | instid1(VALU_DEP_1)
	v_cndmask_b32_e32 v48, v46, v48, vcc_lo
	v_mov_b32_e32 v46, 0
	v_cvt_pk_bf8_f32 v46, v48, v48
	s_delay_alu instid0(VALU_DEP_1) | instskip(SKIP_2) | instid1(VALU_DEP_1)
	v_lshlrev_b32_e32 v48, 8, v46
	v_lshrrev_b32_e32 v46, 24, v49
	v_bfe_u32 v49, v49, 16, 8
	v_cvt_f32_bf8_e32 v49, v49
	s_delay_alu instid0(VALU_DEP_1) | instskip(NEXT) | instid1(VALU_DEP_1)
	v_mul_f32_e32 v9, v49, v9
	v_cmp_nlg_f32_e64 vcc_lo, 0x7f800000, |v9|
	v_med3_num_f32 v49, v9, s89, 0xc7600000
	s_wait_alu 0xfffd
	s_delay_alu instid0(VALU_DEP_1) | instskip(SKIP_1) | instid1(VALU_DEP_1)
	v_cndmask_b32_e32 v9, v49, v9, vcc_lo
	v_mov_b32_e32 v49, 0
	v_cvt_pk_bf8_f32 v49, v9, v9
	s_delay_alu instid0(VALU_DEP_1) | instskip(SKIP_2) | instid1(VALU_DEP_3)
	v_and_b32_e32 v9, 0xff, v49
	v_cvt_f32_bf8_e32 v49, v46
	v_cvt_f32_bf8_e32 v46, v47
	v_lshlrev_b32_e32 v9, 16, v9
	s_delay_alu instid0(VALU_DEP_2) | instskip(NEXT) | instid1(VALU_DEP_1)
	v_mul_f32_e32 v49, v49, v46
	v_cmp_nlg_f32_e64 vcc_lo, 0x7f800000, |v49|
	v_med3_num_f32 v46, v49, s89, 0xc7600000
	s_wait_alu 0xfffd
	s_delay_alu instid0(VALU_DEP_1) | instskip(SKIP_2) | instid1(VALU_DEP_3)
	v_dual_cndmask_b32 v49, v46, v49 :: v_dual_mov_b32 v46, 0
	v_perm_b32 v48, v48, v45, 0xc0c0500
	v_bfe_u32 v45, v10, 8, 8
	v_cvt_pk_bf8_f32 v46, v49, v49
	s_delay_alu instid0(VALU_DEP_2) | instskip(NEXT) | instid1(VALU_DEP_2)
	v_cvt_f32_bf8_e32 v45, v45
	v_lshlrev_b32_e32 v49, 24, v46
	v_lshrrev_b32_e32 v46, 24, v10
	s_delay_alu instid0(VALU_DEP_2) | instskip(SKIP_3) | instid1(VALU_DEP_3)
	v_or3_b32 v9, v49, v9, v48
	v_and_b32_e32 v48, 0xff, v50
	v_and_b32_e32 v49, 0xff, v10
	v_bfe_u32 v10, v10, 16, 8
	v_cvt_f32_bf8_e32 v48, v48
	s_delay_alu instid0(VALU_DEP_3) | instskip(NEXT) | instid1(VALU_DEP_3)
	v_cvt_f32_bf8_e32 v49, v49
	v_cvt_f32_bf8_e32 v10, v10
	s_delay_alu instid0(VALU_DEP_2) | instskip(NEXT) | instid1(VALU_DEP_1)
	v_mul_f32_e32 v48, v48, v49
	v_cmp_nlg_f32_e64 vcc_lo, 0x7f800000, |v48|
	v_med3_num_f32 v49, v48, s89, 0xc7600000
	s_wait_alu 0xfffd
	s_delay_alu instid0(VALU_DEP_1) | instskip(NEXT) | instid1(VALU_DEP_1)
	v_dual_cndmask_b32 v48, v49, v48 :: v_dual_mov_b32 v49, 0
	v_cvt_pk_bf8_f32 v49, v48, v48
	v_bfe_u32 v48, v50, 8, 8
	s_delay_alu instid0(VALU_DEP_1) | instskip(NEXT) | instid1(VALU_DEP_1)
	v_cvt_f32_bf8_e32 v48, v48
	v_mul_f32_e32 v48, v48, v45
	s_delay_alu instid0(VALU_DEP_1) | instskip(SKIP_2) | instid1(VALU_DEP_1)
	v_cmp_nlg_f32_e64 vcc_lo, 0x7f800000, |v48|
	v_med3_num_f32 v45, v48, s89, 0xc7600000
	s_wait_alu 0xfffd
	v_dual_cndmask_b32 v48, v45, v48 :: v_dual_mov_b32 v45, 0
	s_delay_alu instid0(VALU_DEP_1) | instskip(NEXT) | instid1(VALU_DEP_1)
	v_cvt_pk_bf8_f32 v45, v48, v48
	v_lshlrev_b32_e32 v48, 8, v45
	v_lshrrev_b32_e32 v45, 24, v50
	v_bfe_u32 v50, v50, 16, 8
	s_delay_alu instid0(VALU_DEP_3) | instskip(SKIP_1) | instid1(VALU_DEP_3)
	v_perm_b32 v48, v48, v49, 0xc0c0500
	v_and_b32_e32 v49, 0xff, v11
	v_cvt_f32_bf8_e32 v50, v50
	s_delay_alu instid0(VALU_DEP_2) | instskip(NEXT) | instid1(VALU_DEP_2)
	v_cvt_f32_bf8_e32 v49, v49
	v_mul_f32_e32 v10, v50, v10
	s_delay_alu instid0(VALU_DEP_1) | instskip(SKIP_2) | instid1(VALU_DEP_1)
	v_cmp_nlg_f32_e64 vcc_lo, 0x7f800000, |v10|
	v_med3_num_f32 v50, v10, s89, 0xc7600000
	s_wait_alu 0xfffd
	v_cndmask_b32_e32 v10, v50, v10, vcc_lo
	v_mov_b32_e32 v50, 0
	s_delay_alu instid0(VALU_DEP_1) | instskip(NEXT) | instid1(VALU_DEP_1)
	v_cvt_pk_bf8_f32 v50, v10, v10
	v_and_b32_e32 v10, 0xff, v50
	v_cvt_f32_bf8_e32 v50, v45
	v_cvt_f32_bf8_e32 v45, v46
	s_delay_alu instid0(VALU_DEP_3) | instskip(NEXT) | instid1(VALU_DEP_2)
	v_lshlrev_b32_e32 v10, 16, v10
	v_mul_f32_e32 v50, v50, v45
	s_delay_alu instid0(VALU_DEP_1) | instskip(SKIP_2) | instid1(VALU_DEP_1)
	v_cmp_nlg_f32_e64 vcc_lo, 0x7f800000, |v50|
	v_med3_num_f32 v45, v50, s89, 0xc7600000
	s_wait_alu 0xfffd
	v_dual_cndmask_b32 v50, v45, v50 :: v_dual_mov_b32 v45, 0
	s_delay_alu instid0(VALU_DEP_1) | instskip(NEXT) | instid1(VALU_DEP_1)
	v_cvt_pk_bf8_f32 v45, v50, v50
	v_lshlrev_b32_e32 v50, 24, v45
	v_lshrrev_b32_e32 v45, 24, v11
	s_delay_alu instid0(VALU_DEP_2) | instskip(SKIP_3) | instid1(VALU_DEP_3)
	v_or3_b32 v10, v50, v10, v48
	v_and_b32_e32 v48, 0xff, v51
	v_bfe_u32 v50, v11, 8, 8
	v_bfe_u32 v11, v11, 16, 8
	v_cvt_f32_bf8_e32 v48, v48
	s_delay_alu instid0(VALU_DEP_3) | instskip(NEXT) | instid1(VALU_DEP_3)
	v_cvt_f32_bf8_e32 v50, v50
	v_cvt_f32_bf8_e32 v11, v11
	s_delay_alu instid0(VALU_DEP_3) | instskip(NEXT) | instid1(VALU_DEP_1)
	v_mul_f32_e32 v48, v48, v49
	v_cmp_nlg_f32_e64 vcc_lo, 0x7f800000, |v48|
	v_med3_num_f32 v49, v48, s89, 0xc7600000
	s_wait_alu 0xfffd
	s_delay_alu instid0(VALU_DEP_1) | instskip(NEXT) | instid1(VALU_DEP_1)
	v_dual_cndmask_b32 v48, v49, v48 :: v_dual_mov_b32 v49, 0
	v_cvt_pk_bf8_f32 v49, v48, v48
	v_bfe_u32 v48, v51, 8, 8
	s_delay_alu instid0(VALU_DEP_1) | instskip(NEXT) | instid1(VALU_DEP_1)
	v_cvt_f32_bf8_e32 v48, v48
	v_mul_f32_e32 v48, v48, v50
	s_delay_alu instid0(VALU_DEP_1) | instskip(SKIP_2) | instid1(VALU_DEP_1)
	v_cmp_nlg_f32_e64 vcc_lo, 0x7f800000, |v48|
	v_med3_num_f32 v50, v48, s89, 0xc7600000
	s_wait_alu 0xfffd
	v_cndmask_b32_e32 v48, v50, v48, vcc_lo
	v_mov_b32_e32 v50, 0
	s_delay_alu instid0(VALU_DEP_1) | instskip(NEXT) | instid1(VALU_DEP_1)
	v_cvt_pk_bf8_f32 v50, v48, v48
	v_lshlrev_b32_e32 v48, 8, v50
	v_lshrrev_b32_e32 v50, 24, v51
	v_bfe_u32 v51, v51, 16, 8
	s_delay_alu instid0(VALU_DEP_3) | instskip(NEXT) | instid1(VALU_DEP_3)
	v_perm_b32 v48, v48, v49, 0xc0c0500
	v_cvt_f32_bf8_e32 v50, v50
	s_delay_alu instid0(VALU_DEP_3) | instskip(SKIP_2) | instid1(VALU_DEP_2)
	v_cvt_f32_bf8_e32 v51, v51
	s_wait_loadcnt 0x2
	v_and_b32_e32 v49, 0xff, v12
	v_mul_f32_e32 v11, v51, v11
	s_delay_alu instid0(VALU_DEP_2) | instskip(NEXT) | instid1(VALU_DEP_2)
	v_cvt_f32_bf8_e32 v49, v49
	v_cmp_nlg_f32_e64 vcc_lo, 0x7f800000, |v11|
	v_med3_num_f32 v51, v11, s89, 0xc7600000
	s_wait_alu 0xfffd
	s_delay_alu instid0(VALU_DEP_1) | instskip(SKIP_1) | instid1(VALU_DEP_1)
	v_cndmask_b32_e32 v11, v51, v11, vcc_lo
	v_mov_b32_e32 v51, 0
	v_cvt_pk_bf8_f32 v51, v11, v11
	s_delay_alu instid0(VALU_DEP_1) | instskip(SKIP_1) | instid1(VALU_DEP_2)
	v_and_b32_e32 v11, 0xff, v51
	v_cvt_f32_bf8_e32 v51, v45
	v_lshlrev_b32_e32 v11, 16, v11
	s_delay_alu instid0(VALU_DEP_2) | instskip(NEXT) | instid1(VALU_DEP_1)
	v_mul_f32_e32 v50, v50, v51
	v_cmp_nlg_f32_e64 vcc_lo, 0x7f800000, |v50|
	v_med3_num_f32 v51, v50, s89, 0xc7600000
	s_wait_alu 0xfffd
	s_delay_alu instid0(VALU_DEP_1) | instskip(NEXT) | instid1(VALU_DEP_1)
	v_dual_cndmask_b32 v50, v51, v50 :: v_dual_mov_b32 v51, 0
	v_cvt_pk_bf8_f32 v51, v50, v50
	s_delay_alu instid0(VALU_DEP_1) | instskip(SKIP_1) | instid1(VALU_DEP_2)
	v_lshlrev_b32_e32 v50, 24, v51
	v_lshrrev_b32_e32 v51, 24, v12
	v_or3_b32 v11, v50, v11, v48
	v_and_b32_e32 v48, 0xff, v36
	v_bfe_u32 v50, v12, 8, 8
	v_bfe_u32 v12, v12, 16, 8
	s_delay_alu instid0(VALU_DEP_3) | instskip(NEXT) | instid1(VALU_DEP_3)
	v_cvt_f32_bf8_e32 v48, v48
	v_cvt_f32_bf8_e32 v50, v50
	s_delay_alu instid0(VALU_DEP_3) | instskip(NEXT) | instid1(VALU_DEP_3)
	v_cvt_f32_bf8_e32 v12, v12
	v_mul_f32_e32 v48, v48, v49
	s_delay_alu instid0(VALU_DEP_1) | instskip(SKIP_2) | instid1(VALU_DEP_1)
	v_cmp_nlg_f32_e64 vcc_lo, 0x7f800000, |v48|
	v_med3_num_f32 v49, v48, s89, 0xc7600000
	s_wait_alu 0xfffd
	v_dual_cndmask_b32 v48, v49, v48 :: v_dual_mov_b32 v49, 0
	s_delay_alu instid0(VALU_DEP_1) | instskip(SKIP_1) | instid1(VALU_DEP_1)
	v_cvt_pk_bf8_f32 v49, v48, v48
	v_bfe_u32 v48, v36, 8, 8
	v_cvt_f32_bf8_e32 v48, v48
	s_delay_alu instid0(VALU_DEP_1) | instskip(NEXT) | instid1(VALU_DEP_1)
	v_mul_f32_e32 v48, v48, v50
	v_cmp_nlg_f32_e64 vcc_lo, 0x7f800000, |v48|
	v_med3_num_f32 v50, v48, s89, 0xc7600000
	s_wait_alu 0xfffd
	s_delay_alu instid0(VALU_DEP_1) | instskip(SKIP_1) | instid1(VALU_DEP_1)
	v_cndmask_b32_e32 v48, v50, v48, vcc_lo
	v_mov_b32_e32 v50, 0
	v_cvt_pk_bf8_f32 v50, v48, v48
	s_delay_alu instid0(VALU_DEP_1) | instskip(SKIP_2) | instid1(VALU_DEP_3)
	v_lshlrev_b32_e32 v48, 8, v50
	v_lshrrev_b32_e32 v50, 24, v36
	v_bfe_u32 v36, v36, 16, 8
	v_perm_b32 v48, v48, v49, 0xc0c0500
	v_bfe_u32 v49, v13, 8, 8
	s_delay_alu instid0(VALU_DEP_3) | instskip(NEXT) | instid1(VALU_DEP_2)
	v_cvt_f32_bf8_e32 v36, v36
	v_cvt_f32_bf8_e32 v49, v49
	s_delay_alu instid0(VALU_DEP_2) | instskip(NEXT) | instid1(VALU_DEP_1)
	v_mul_f32_e32 v12, v36, v12
	v_cmp_nlg_f32_e64 vcc_lo, 0x7f800000, |v12|
	v_med3_num_f32 v36, v12, s89, 0xc7600000
	s_wait_alu 0xfffd
	s_delay_alu instid0(VALU_DEP_1) | instskip(SKIP_1) | instid1(VALU_DEP_1)
	v_cndmask_b32_e32 v12, v36, v12, vcc_lo
	v_mov_b32_e32 v36, 0
	v_cvt_pk_bf8_f32 v36, v12, v12
	s_delay_alu instid0(VALU_DEP_1) | instskip(SKIP_2) | instid1(VALU_DEP_3)
	v_and_b32_e32 v12, 0xff, v36
	v_cvt_f32_bf8_e32 v36, v50
	v_cvt_f32_bf8_e32 v50, v51
	v_lshlrev_b32_e32 v12, 16, v12
	s_delay_alu instid0(VALU_DEP_2) | instskip(NEXT) | instid1(VALU_DEP_1)
	v_mul_f32_e32 v36, v36, v50
	v_cmp_nlg_f32_e64 vcc_lo, 0x7f800000, |v36|
	v_med3_num_f32 v50, v36, s89, 0xc7600000
	s_wait_alu 0xfffd
	s_delay_alu instid0(VALU_DEP_1) | instskip(SKIP_1) | instid1(VALU_DEP_1)
	v_cndmask_b32_e32 v36, v50, v36, vcc_lo
	v_mov_b32_e32 v50, 0
	v_cvt_pk_bf8_f32 v50, v36, v36
	s_delay_alu instid0(VALU_DEP_1) | instskip(SKIP_1) | instid1(VALU_DEP_2)
	v_lshlrev_b32_e32 v36, 24, v50
	v_lshrrev_b32_e32 v50, 24, v13
	v_or3_b32 v12, v36, v12, v48
	v_and_b32_e32 v36, 0xff, v37
	v_and_b32_e32 v48, 0xff, v13
	v_bfe_u32 v13, v13, 16, 8
	s_delay_alu instid0(VALU_DEP_3) | instskip(NEXT) | instid1(VALU_DEP_3)
	v_cvt_f32_bf8_e32 v36, v36
	v_cvt_f32_bf8_e32 v48, v48
	s_delay_alu instid0(VALU_DEP_3) | instskip(NEXT) | instid1(VALU_DEP_2)
	v_cvt_f32_bf8_e32 v13, v13
	v_mul_f32_e32 v36, v36, v48
	s_delay_alu instid0(VALU_DEP_1) | instskip(SKIP_2) | instid1(VALU_DEP_1)
	v_cmp_nlg_f32_e64 vcc_lo, 0x7f800000, |v36|
	v_med3_num_f32 v48, v36, s89, 0xc7600000
	s_wait_alu 0xfffd
	v_cndmask_b32_e32 v36, v48, v36, vcc_lo
	v_mov_b32_e32 v48, 0
	s_delay_alu instid0(VALU_DEP_1) | instskip(SKIP_1) | instid1(VALU_DEP_1)
	v_cvt_pk_bf8_f32 v48, v36, v36
	v_bfe_u32 v36, v37, 8, 8
	v_cvt_f32_bf8_e32 v36, v36
	s_delay_alu instid0(VALU_DEP_1) | instskip(NEXT) | instid1(VALU_DEP_1)
	v_mul_f32_e32 v36, v36, v49
	v_cmp_nlg_f32_e64 vcc_lo, 0x7f800000, |v36|
	v_med3_num_f32 v49, v36, s89, 0xc7600000
	s_wait_alu 0xfffd
	s_delay_alu instid0(VALU_DEP_1) | instskip(NEXT) | instid1(VALU_DEP_1)
	v_dual_cndmask_b32 v36, v49, v36 :: v_dual_mov_b32 v49, 0
	v_cvt_pk_bf8_f32 v49, v36, v36
	s_delay_alu instid0(VALU_DEP_1) | instskip(SKIP_2) | instid1(VALU_DEP_3)
	v_lshlrev_b32_e32 v36, 8, v49
	v_lshrrev_b32_e32 v49, 24, v37
	v_bfe_u32 v37, v37, 16, 8
	v_perm_b32 v36, v36, v48, 0xc0c0500
	v_bfe_u32 v48, v14, 8, 8
	s_delay_alu instid0(VALU_DEP_3) | instskip(NEXT) | instid1(VALU_DEP_2)
	v_cvt_f32_bf8_e32 v37, v37
	v_cvt_f32_bf8_e32 v48, v48
	s_delay_alu instid0(VALU_DEP_2) | instskip(NEXT) | instid1(VALU_DEP_1)
	v_mul_f32_e32 v13, v37, v13
	v_cmp_nlg_f32_e64 vcc_lo, 0x7f800000, |v13|
	v_med3_num_f32 v37, v13, s89, 0xc7600000
	s_wait_alu 0xfffd
	s_delay_alu instid0(VALU_DEP_1) | instskip(SKIP_1) | instid1(VALU_DEP_1)
	v_cndmask_b32_e32 v13, v37, v13, vcc_lo
	v_mov_b32_e32 v37, 0
	v_cvt_pk_bf8_f32 v37, v13, v13
	s_delay_alu instid0(VALU_DEP_1) | instskip(SKIP_2) | instid1(VALU_DEP_3)
	v_and_b32_e32 v13, 0xff, v37
	v_cvt_f32_bf8_e32 v37, v49
	v_cvt_f32_bf8_e32 v49, v50
	v_lshlrev_b32_e32 v13, 16, v13
	s_delay_alu instid0(VALU_DEP_2) | instskip(NEXT) | instid1(VALU_DEP_1)
	v_mul_f32_e32 v37, v37, v49
	v_cmp_nlg_f32_e64 vcc_lo, 0x7f800000, |v37|
	v_med3_num_f32 v49, v37, s89, 0xc7600000
	s_wait_alu 0xfffd
	s_delay_alu instid0(VALU_DEP_1) | instskip(SKIP_1) | instid1(VALU_DEP_1)
	v_cndmask_b32_e32 v37, v49, v37, vcc_lo
	v_mov_b32_e32 v49, 0
	v_cvt_pk_bf8_f32 v49, v37, v37
	s_delay_alu instid0(VALU_DEP_1) | instskip(SKIP_1) | instid1(VALU_DEP_2)
	v_lshlrev_b32_e32 v37, 24, v49
	v_lshrrev_b32_e32 v49, 24, v14
	v_or3_b32 v13, v37, v13, v36
	v_and_b32_e32 v36, 0xff, v38
	v_and_b32_e32 v37, 0xff, v14
	v_bfe_u32 v14, v14, 16, 8
	s_delay_alu instid0(VALU_DEP_3) | instskip(NEXT) | instid1(VALU_DEP_3)
	v_cvt_f32_bf8_e32 v36, v36
	v_cvt_f32_bf8_e32 v37, v37
	s_delay_alu instid0(VALU_DEP_3) | instskip(NEXT) | instid1(VALU_DEP_2)
	v_cvt_f32_bf8_e32 v14, v14
	v_mul_f32_e32 v36, v36, v37
	s_delay_alu instid0(VALU_DEP_1) | instskip(SKIP_2) | instid1(VALU_DEP_1)
	v_cmp_nlg_f32_e64 vcc_lo, 0x7f800000, |v36|
	v_med3_num_f32 v37, v36, s89, 0xc7600000
	s_wait_alu 0xfffd
	v_dual_cndmask_b32 v36, v37, v36 :: v_dual_mov_b32 v37, 0
	s_delay_alu instid0(VALU_DEP_1) | instskip(SKIP_1) | instid1(VALU_DEP_1)
	v_cvt_pk_bf8_f32 v37, v36, v36
	v_bfe_u32 v36, v38, 8, 8
	v_cvt_f32_bf8_e32 v36, v36
	s_delay_alu instid0(VALU_DEP_1) | instskip(NEXT) | instid1(VALU_DEP_1)
	v_mul_f32_e32 v36, v36, v48
	v_cmp_nlg_f32_e64 vcc_lo, 0x7f800000, |v36|
	v_med3_num_f32 v48, v36, s89, 0xc7600000
	s_wait_alu 0xfffd
	s_delay_alu instid0(VALU_DEP_1) | instskip(SKIP_1) | instid1(VALU_DEP_1)
	v_cndmask_b32_e32 v36, v48, v36, vcc_lo
	v_mov_b32_e32 v48, 0
	v_cvt_pk_bf8_f32 v48, v36, v36
	s_delay_alu instid0(VALU_DEP_1) | instskip(SKIP_2) | instid1(VALU_DEP_3)
	v_lshlrev_b32_e32 v36, 8, v48
	v_lshrrev_b32_e32 v48, 24, v38
	v_bfe_u32 v38, v38, 16, 8
	v_perm_b32 v36, v36, v37, 0xc0c0500
	v_and_b32_e32 v37, 0xff, v15
	s_delay_alu instid0(VALU_DEP_3) | instskip(NEXT) | instid1(VALU_DEP_2)
	v_cvt_f32_bf8_e32 v38, v38
	v_cvt_f32_bf8_e32 v37, v37
	s_delay_alu instid0(VALU_DEP_2) | instskip(NEXT) | instid1(VALU_DEP_1)
	v_mul_f32_e32 v14, v38, v14
	v_cmp_nlg_f32_e64 vcc_lo, 0x7f800000, |v14|
	v_med3_num_f32 v38, v14, s89, 0xc7600000
	s_wait_alu 0xfffd
	s_delay_alu instid0(VALU_DEP_1) | instskip(SKIP_1) | instid1(VALU_DEP_1)
	v_cndmask_b32_e32 v14, v38, v14, vcc_lo
	v_mov_b32_e32 v38, 0
	v_cvt_pk_bf8_f32 v38, v14, v14
	s_delay_alu instid0(VALU_DEP_1) | instskip(SKIP_2) | instid1(VALU_DEP_3)
	v_and_b32_e32 v14, 0xff, v38
	v_cvt_f32_bf8_e32 v38, v48
	v_cvt_f32_bf8_e32 v48, v49
	v_lshlrev_b32_e32 v14, 16, v14
	s_delay_alu instid0(VALU_DEP_2) | instskip(NEXT) | instid1(VALU_DEP_1)
	v_mul_f32_e32 v38, v38, v48
	v_cmp_nlg_f32_e64 vcc_lo, 0x7f800000, |v38|
	v_med3_num_f32 v48, v38, s89, 0xc7600000
	s_wait_alu 0xfffd
	s_delay_alu instid0(VALU_DEP_1) | instskip(SKIP_1) | instid1(VALU_DEP_1)
	v_cndmask_b32_e32 v38, v48, v38, vcc_lo
	v_mov_b32_e32 v48, 0
	v_cvt_pk_bf8_f32 v48, v38, v38
	s_delay_alu instid0(VALU_DEP_1) | instskip(SKIP_1) | instid1(VALU_DEP_2)
	v_lshlrev_b32_e32 v38, 24, v48
	v_lshrrev_b32_e32 v48, 24, v15
	v_or3_b32 v14, v38, v14, v36
	v_and_b32_e32 v36, 0xff, v39
	v_bfe_u32 v38, v15, 8, 8
	v_bfe_u32 v15, v15, 16, 8
	s_delay_alu instid0(VALU_DEP_3) | instskip(NEXT) | instid1(VALU_DEP_3)
	v_cvt_f32_bf8_e32 v36, v36
	v_cvt_f32_bf8_e32 v38, v38
	s_delay_alu instid0(VALU_DEP_3) | instskip(NEXT) | instid1(VALU_DEP_3)
	v_cvt_f32_bf8_e32 v15, v15
	v_mul_f32_e32 v36, v36, v37
	s_delay_alu instid0(VALU_DEP_1) | instskip(SKIP_2) | instid1(VALU_DEP_1)
	v_cmp_nlg_f32_e64 vcc_lo, 0x7f800000, |v36|
	v_med3_num_f32 v37, v36, s89, 0xc7600000
	s_wait_alu 0xfffd
	v_dual_cndmask_b32 v36, v37, v36 :: v_dual_mov_b32 v37, 0
	s_delay_alu instid0(VALU_DEP_1) | instskip(SKIP_1) | instid1(VALU_DEP_1)
	v_cvt_pk_bf8_f32 v37, v36, v36
	v_bfe_u32 v36, v39, 8, 8
	v_cvt_f32_bf8_e32 v36, v36
	s_delay_alu instid0(VALU_DEP_1) | instskip(NEXT) | instid1(VALU_DEP_1)
	v_mul_f32_e32 v36, v36, v38
	v_cmp_nlg_f32_e64 vcc_lo, 0x7f800000, |v36|
	v_med3_num_f32 v38, v36, s89, 0xc7600000
	s_wait_alu 0xfffd
	s_delay_alu instid0(VALU_DEP_1) | instskip(SKIP_1) | instid1(VALU_DEP_1)
	v_cndmask_b32_e32 v36, v38, v36, vcc_lo
	v_mov_b32_e32 v38, 0
	v_cvt_pk_bf8_f32 v38, v36, v36
	s_delay_alu instid0(VALU_DEP_1) | instskip(SKIP_2) | instid1(VALU_DEP_3)
	v_lshlrev_b32_e32 v36, 8, v38
	v_lshrrev_b32_e32 v38, 24, v39
	v_bfe_u32 v39, v39, 16, 8
	v_perm_b32 v36, v36, v37, 0xc0c0500
	s_delay_alu instid0(VALU_DEP_3) | instskip(NEXT) | instid1(VALU_DEP_3)
	v_cvt_f32_bf8_e32 v38, v38
	v_cvt_f32_bf8_e32 v39, v39
	s_wait_loadcnt 0x1
	v_and_b32_e32 v37, 0xff, v24
	s_delay_alu instid0(VALU_DEP_2) | instskip(NEXT) | instid1(VALU_DEP_2)
	v_mul_f32_e32 v15, v39, v15
	v_cvt_f32_bf8_e32 v37, v37
	s_delay_alu instid0(VALU_DEP_2) | instskip(SKIP_2) | instid1(VALU_DEP_1)
	v_cmp_nlg_f32_e64 vcc_lo, 0x7f800000, |v15|
	v_med3_num_f32 v39, v15, s89, 0xc7600000
	s_wait_alu 0xfffd
	v_cndmask_b32_e32 v15, v39, v15, vcc_lo
	v_mov_b32_e32 v39, 0
	s_delay_alu instid0(VALU_DEP_1) | instskip(NEXT) | instid1(VALU_DEP_1)
	v_cvt_pk_bf8_f32 v39, v15, v15
	v_and_b32_e32 v15, 0xff, v39
	v_cvt_f32_bf8_e32 v39, v48
	s_delay_alu instid0(VALU_DEP_2) | instskip(NEXT) | instid1(VALU_DEP_2)
	v_lshlrev_b32_e32 v15, 16, v15
	v_mul_f32_e32 v38, v38, v39
	s_delay_alu instid0(VALU_DEP_1) | instskip(SKIP_2) | instid1(VALU_DEP_1)
	v_cmp_nlg_f32_e64 vcc_lo, 0x7f800000, |v38|
	v_med3_num_f32 v39, v38, s89, 0xc7600000
	s_wait_alu 0xfffd
	v_dual_cndmask_b32 v38, v39, v38 :: v_dual_mov_b32 v39, 0
	s_delay_alu instid0(VALU_DEP_1) | instskip(NEXT) | instid1(VALU_DEP_1)
	v_cvt_pk_bf8_f32 v39, v38, v38
	v_lshlrev_b32_e32 v38, 24, v39
	v_lshrrev_b32_e32 v39, 24, v24
	s_delay_alu instid0(VALU_DEP_2) | instskip(SKIP_3) | instid1(VALU_DEP_3)
	v_or3_b32 v15, v38, v15, v36
	v_and_b32_e32 v36, 0xff, v32
	v_bfe_u32 v38, v24, 8, 8
	v_bfe_u32 v24, v24, 16, 8
	v_cvt_f32_bf8_e32 v36, v36
	s_delay_alu instid0(VALU_DEP_3) | instskip(NEXT) | instid1(VALU_DEP_3)
	v_cvt_f32_bf8_e32 v38, v38
	v_cvt_f32_bf8_e32 v24, v24
	s_delay_alu instid0(VALU_DEP_3) | instskip(NEXT) | instid1(VALU_DEP_1)
	v_mul_f32_e32 v36, v36, v37
	v_cmp_nlg_f32_e64 vcc_lo, 0x7f800000, |v36|
	v_med3_num_f32 v37, v36, s89, 0xc7600000
	s_wait_alu 0xfffd
	s_delay_alu instid0(VALU_DEP_1) | instskip(NEXT) | instid1(VALU_DEP_1)
	v_dual_cndmask_b32 v36, v37, v36 :: v_dual_mov_b32 v37, 0
	v_cvt_pk_bf8_f32 v37, v36, v36
	v_bfe_u32 v36, v32, 8, 8
	s_delay_alu instid0(VALU_DEP_1) | instskip(NEXT) | instid1(VALU_DEP_1)
	v_cvt_f32_bf8_e32 v36, v36
	v_mul_f32_e32 v36, v36, v38
	s_delay_alu instid0(VALU_DEP_1) | instskip(SKIP_2) | instid1(VALU_DEP_1)
	v_cmp_nlg_f32_e64 vcc_lo, 0x7f800000, |v36|
	v_med3_num_f32 v38, v36, s89, 0xc7600000
	s_wait_alu 0xfffd
	v_cndmask_b32_e32 v36, v38, v36, vcc_lo
	v_mov_b32_e32 v38, 0
	s_delay_alu instid0(VALU_DEP_1) | instskip(NEXT) | instid1(VALU_DEP_1)
	v_cvt_pk_bf8_f32 v38, v36, v36
	v_lshlrev_b32_e32 v36, 8, v38
	v_lshrrev_b32_e32 v38, 24, v32
	v_bfe_u32 v32, v32, 16, 8
	s_delay_alu instid0(VALU_DEP_3) | instskip(SKIP_1) | instid1(VALU_DEP_3)
	v_perm_b32 v36, v36, v37, 0xc0c0500
	v_bfe_u32 v37, v25, 8, 8
	v_cvt_f32_bf8_e32 v32, v32
	s_delay_alu instid0(VALU_DEP_2) | instskip(NEXT) | instid1(VALU_DEP_2)
	v_cvt_f32_bf8_e32 v37, v37
	v_mul_f32_e32 v24, v32, v24
	s_delay_alu instid0(VALU_DEP_1) | instskip(SKIP_2) | instid1(VALU_DEP_1)
	v_cmp_nlg_f32_e64 vcc_lo, 0x7f800000, |v24|
	v_med3_num_f32 v32, v24, s89, 0xc7600000
	s_wait_alu 0xfffd
	v_cndmask_b32_e32 v24, v32, v24, vcc_lo
	v_mov_b32_e32 v32, 0
	s_delay_alu instid0(VALU_DEP_1) | instskip(NEXT) | instid1(VALU_DEP_1)
	v_cvt_pk_bf8_f32 v32, v24, v24
	v_and_b32_e32 v24, 0xff, v32
	v_cvt_f32_bf8_e32 v32, v38
	v_cvt_f32_bf8_e32 v38, v39
	s_delay_alu instid0(VALU_DEP_3) | instskip(NEXT) | instid1(VALU_DEP_2)
	v_lshlrev_b32_e32 v24, 16, v24
	v_mul_f32_e32 v32, v32, v38
	s_delay_alu instid0(VALU_DEP_1) | instskip(SKIP_2) | instid1(VALU_DEP_1)
	v_cmp_nlg_f32_e64 vcc_lo, 0x7f800000, |v32|
	v_med3_num_f32 v38, v32, s89, 0xc7600000
	s_wait_alu 0xfffd
	v_cndmask_b32_e32 v32, v38, v32, vcc_lo
	v_mov_b32_e32 v38, 0
	s_delay_alu instid0(VALU_DEP_1) | instskip(NEXT) | instid1(VALU_DEP_1)
	v_cvt_pk_bf8_f32 v38, v32, v32
	v_lshlrev_b32_e32 v32, 24, v38
	v_lshrrev_b32_e32 v38, 24, v25
	s_delay_alu instid0(VALU_DEP_2) | instskip(SKIP_3) | instid1(VALU_DEP_3)
	v_or3_b32 v24, v32, v24, v36
	v_and_b32_e32 v32, 0xff, v33
	v_and_b32_e32 v36, 0xff, v25
	v_bfe_u32 v25, v25, 16, 8
	v_cvt_f32_bf8_e32 v32, v32
	s_delay_alu instid0(VALU_DEP_3) | instskip(NEXT) | instid1(VALU_DEP_3)
	v_cvt_f32_bf8_e32 v36, v36
	v_cvt_f32_bf8_e32 v25, v25
	s_delay_alu instid0(VALU_DEP_2) | instskip(NEXT) | instid1(VALU_DEP_1)
	v_mul_f32_e32 v32, v32, v36
	v_cmp_nlg_f32_e64 vcc_lo, 0x7f800000, |v32|
	v_med3_num_f32 v36, v32, s89, 0xc7600000
	s_wait_alu 0xfffd
	s_delay_alu instid0(VALU_DEP_1) | instskip(SKIP_1) | instid1(VALU_DEP_1)
	v_cndmask_b32_e32 v32, v36, v32, vcc_lo
	v_mov_b32_e32 v36, 0
	v_cvt_pk_bf8_f32 v36, v32, v32
	v_bfe_u32 v32, v33, 8, 8
	s_delay_alu instid0(VALU_DEP_1) | instskip(NEXT) | instid1(VALU_DEP_1)
	v_cvt_f32_bf8_e32 v32, v32
	v_mul_f32_e32 v32, v32, v37
	s_delay_alu instid0(VALU_DEP_1) | instskip(SKIP_2) | instid1(VALU_DEP_1)
	v_cmp_nlg_f32_e64 vcc_lo, 0x7f800000, |v32|
	v_med3_num_f32 v37, v32, s89, 0xc7600000
	s_wait_alu 0xfffd
	v_dual_cndmask_b32 v32, v37, v32 :: v_dual_mov_b32 v37, 0
	s_delay_alu instid0(VALU_DEP_1) | instskip(NEXT) | instid1(VALU_DEP_1)
	v_cvt_pk_bf8_f32 v37, v32, v32
	v_lshlrev_b32_e32 v32, 8, v37
	v_lshrrev_b32_e32 v37, 24, v33
	v_bfe_u32 v33, v33, 16, 8
	s_delay_alu instid0(VALU_DEP_3) | instskip(SKIP_1) | instid1(VALU_DEP_3)
	v_perm_b32 v32, v32, v36, 0xc0c0500
	v_bfe_u32 v36, v26, 8, 8
	v_cvt_f32_bf8_e32 v33, v33
	s_delay_alu instid0(VALU_DEP_2) | instskip(NEXT) | instid1(VALU_DEP_2)
	v_cvt_f32_bf8_e32 v36, v36
	v_mul_f32_e32 v25, v33, v25
	s_delay_alu instid0(VALU_DEP_1) | instskip(SKIP_2) | instid1(VALU_DEP_1)
	v_cmp_nlg_f32_e64 vcc_lo, 0x7f800000, |v25|
	v_med3_num_f32 v33, v25, s89, 0xc7600000
	s_wait_alu 0xfffd
	v_cndmask_b32_e32 v25, v33, v25, vcc_lo
	v_mov_b32_e32 v33, 0
	s_delay_alu instid0(VALU_DEP_1) | instskip(NEXT) | instid1(VALU_DEP_1)
	v_cvt_pk_bf8_f32 v33, v25, v25
	v_and_b32_e32 v25, 0xff, v33
	v_cvt_f32_bf8_e32 v33, v37
	v_cvt_f32_bf8_e32 v37, v38
	s_delay_alu instid0(VALU_DEP_3) | instskip(NEXT) | instid1(VALU_DEP_2)
	v_lshlrev_b32_e32 v25, 16, v25
	v_mul_f32_e32 v33, v33, v37
	s_delay_alu instid0(VALU_DEP_1) | instskip(SKIP_2) | instid1(VALU_DEP_1)
	v_cmp_nlg_f32_e64 vcc_lo, 0x7f800000, |v33|
	v_med3_num_f32 v37, v33, s89, 0xc7600000
	s_wait_alu 0xfffd
	v_cndmask_b32_e32 v33, v37, v33, vcc_lo
	v_mov_b32_e32 v37, 0
	s_delay_alu instid0(VALU_DEP_1) | instskip(NEXT) | instid1(VALU_DEP_1)
	v_cvt_pk_bf8_f32 v37, v33, v33
	v_lshlrev_b32_e32 v33, 24, v37
	v_lshrrev_b32_e32 v37, 24, v26
	s_delay_alu instid0(VALU_DEP_2) | instskip(SKIP_3) | instid1(VALU_DEP_3)
	v_or3_b32 v25, v33, v25, v32
	v_and_b32_e32 v32, 0xff, v34
	v_and_b32_e32 v33, 0xff, v26
	v_bfe_u32 v26, v26, 16, 8
	v_cvt_f32_bf8_e32 v32, v32
	s_delay_alu instid0(VALU_DEP_3) | instskip(NEXT) | instid1(VALU_DEP_3)
	v_cvt_f32_bf8_e32 v33, v33
	v_cvt_f32_bf8_e32 v26, v26
	s_delay_alu instid0(VALU_DEP_2) | instskip(NEXT) | instid1(VALU_DEP_1)
	v_mul_f32_e32 v32, v32, v33
	v_cmp_nlg_f32_e64 vcc_lo, 0x7f800000, |v32|
	v_med3_num_f32 v33, v32, s89, 0xc7600000
	s_wait_alu 0xfffd
	s_delay_alu instid0(VALU_DEP_1) | instskip(NEXT) | instid1(VALU_DEP_1)
	v_dual_cndmask_b32 v32, v33, v32 :: v_dual_mov_b32 v33, 0
	v_cvt_pk_bf8_f32 v33, v32, v32
	v_bfe_u32 v32, v34, 8, 8
	s_delay_alu instid0(VALU_DEP_1) | instskip(NEXT) | instid1(VALU_DEP_1)
	v_cvt_f32_bf8_e32 v32, v32
	v_mul_f32_e32 v32, v32, v36
	s_delay_alu instid0(VALU_DEP_1) | instskip(SKIP_2) | instid1(VALU_DEP_1)
	v_cmp_nlg_f32_e64 vcc_lo, 0x7f800000, |v32|
	v_med3_num_f32 v36, v32, s89, 0xc7600000
	s_wait_alu 0xfffd
	v_cndmask_b32_e32 v32, v36, v32, vcc_lo
	v_mov_b32_e32 v36, 0
	s_delay_alu instid0(VALU_DEP_1) | instskip(NEXT) | instid1(VALU_DEP_1)
	v_cvt_pk_bf8_f32 v36, v32, v32
	v_lshlrev_b32_e32 v32, 8, v36
	v_lshrrev_b32_e32 v36, 24, v34
	v_bfe_u32 v34, v34, 16, 8
	s_delay_alu instid0(VALU_DEP_3) | instskip(SKIP_1) | instid1(VALU_DEP_3)
	v_perm_b32 v32, v32, v33, 0xc0c0500
	v_and_b32_e32 v33, 0xff, v27
	v_cvt_f32_bf8_e32 v34, v34
	s_delay_alu instid0(VALU_DEP_2) | instskip(NEXT) | instid1(VALU_DEP_2)
	v_cvt_f32_bf8_e32 v33, v33
	v_mul_f32_e32 v26, v34, v26
	s_delay_alu instid0(VALU_DEP_1) | instskip(SKIP_2) | instid1(VALU_DEP_1)
	v_cmp_nlg_f32_e64 vcc_lo, 0x7f800000, |v26|
	v_med3_num_f32 v34, v26, s89, 0xc7600000
	s_wait_alu 0xfffd
	v_cndmask_b32_e32 v26, v34, v26, vcc_lo
	v_mov_b32_e32 v34, 0
	s_delay_alu instid0(VALU_DEP_1) | instskip(NEXT) | instid1(VALU_DEP_1)
	v_cvt_pk_bf8_f32 v34, v26, v26
	v_and_b32_e32 v26, 0xff, v34
	v_cvt_f32_bf8_e32 v34, v36
	v_cvt_f32_bf8_e32 v36, v37
	s_delay_alu instid0(VALU_DEP_3) | instskip(NEXT) | instid1(VALU_DEP_2)
	v_lshlrev_b32_e32 v26, 16, v26
	v_mul_f32_e32 v34, v34, v36
	s_delay_alu instid0(VALU_DEP_1) | instskip(SKIP_2) | instid1(VALU_DEP_1)
	v_cmp_nlg_f32_e64 vcc_lo, 0x7f800000, |v34|
	v_med3_num_f32 v36, v34, s89, 0xc7600000
	s_wait_alu 0xfffd
	v_cndmask_b32_e32 v34, v36, v34, vcc_lo
	v_mov_b32_e32 v36, 0
	s_delay_alu instid0(VALU_DEP_1) | instskip(NEXT) | instid1(VALU_DEP_1)
	v_cvt_pk_bf8_f32 v36, v34, v34
	v_lshlrev_b32_e32 v34, 24, v36
	v_lshrrev_b32_e32 v36, 24, v27
	s_delay_alu instid0(VALU_DEP_2) | instskip(SKIP_3) | instid1(VALU_DEP_3)
	v_or3_b32 v26, v34, v26, v32
	v_and_b32_e32 v32, 0xff, v35
	v_bfe_u32 v34, v27, 8, 8
	v_bfe_u32 v27, v27, 16, 8
	v_cvt_f32_bf8_e32 v32, v32
	s_delay_alu instid0(VALU_DEP_3) | instskip(NEXT) | instid1(VALU_DEP_3)
	v_cvt_f32_bf8_e32 v34, v34
	v_cvt_f32_bf8_e32 v27, v27
	s_delay_alu instid0(VALU_DEP_3) | instskip(NEXT) | instid1(VALU_DEP_1)
	v_mul_f32_e32 v32, v32, v33
	v_cmp_nlg_f32_e64 vcc_lo, 0x7f800000, |v32|
	v_med3_num_f32 v33, v32, s89, 0xc7600000
	s_wait_alu 0xfffd
	s_delay_alu instid0(VALU_DEP_1) | instskip(NEXT) | instid1(VALU_DEP_1)
	v_dual_cndmask_b32 v32, v33, v32 :: v_dual_mov_b32 v33, 0
	v_cvt_pk_bf8_f32 v33, v32, v32
	v_bfe_u32 v32, v35, 8, 8
	s_delay_alu instid0(VALU_DEP_1) | instskip(NEXT) | instid1(VALU_DEP_1)
	v_cvt_f32_bf8_e32 v32, v32
	v_mul_f32_e32 v32, v32, v34
	s_delay_alu instid0(VALU_DEP_1) | instskip(SKIP_2) | instid1(VALU_DEP_1)
	v_cmp_nlg_f32_e64 vcc_lo, 0x7f800000, |v32|
	v_med3_num_f32 v34, v32, s89, 0xc7600000
	s_wait_alu 0xfffd
	v_cndmask_b32_e32 v32, v34, v32, vcc_lo
	v_mov_b32_e32 v34, 0
	s_delay_alu instid0(VALU_DEP_1) | instskip(NEXT) | instid1(VALU_DEP_1)
	v_cvt_pk_bf8_f32 v34, v32, v32
	v_lshlrev_b32_e32 v32, 8, v34
	v_lshrrev_b32_e32 v34, 24, v35
	v_bfe_u32 v35, v35, 16, 8
	s_delay_alu instid0(VALU_DEP_3) | instskip(NEXT) | instid1(VALU_DEP_3)
	v_perm_b32 v32, v32, v33, 0xc0c0500
	v_cvt_f32_bf8_e32 v34, v34
	s_delay_alu instid0(VALU_DEP_3) | instskip(SKIP_2) | instid1(VALU_DEP_2)
	v_cvt_f32_bf8_e32 v35, v35
	s_wait_loadcnt 0x0
	v_and_b32_e32 v33, 0xff, v16
	v_mul_f32_e32 v27, v35, v27
	s_delay_alu instid0(VALU_DEP_2) | instskip(NEXT) | instid1(VALU_DEP_2)
	v_cvt_f32_bf8_e32 v33, v33
	v_cmp_nlg_f32_e64 vcc_lo, 0x7f800000, |v27|
	v_med3_num_f32 v35, v27, s89, 0xc7600000
	s_wait_alu 0xfffd
	s_delay_alu instid0(VALU_DEP_1) | instskip(SKIP_1) | instid1(VALU_DEP_1)
	v_cndmask_b32_e32 v27, v35, v27, vcc_lo
	v_mov_b32_e32 v35, 0
	v_cvt_pk_bf8_f32 v35, v27, v27
	s_delay_alu instid0(VALU_DEP_1) | instskip(SKIP_1) | instid1(VALU_DEP_2)
	v_and_b32_e32 v27, 0xff, v35
	v_cvt_f32_bf8_e32 v35, v36
	v_lshlrev_b32_e32 v27, 16, v27
	s_delay_alu instid0(VALU_DEP_2) | instskip(NEXT) | instid1(VALU_DEP_1)
	v_mul_f32_e32 v34, v34, v35
	v_cmp_nlg_f32_e64 vcc_lo, 0x7f800000, |v34|
	v_med3_num_f32 v35, v34, s89, 0xc7600000
	s_wait_alu 0xfffd
	s_delay_alu instid0(VALU_DEP_1) | instskip(NEXT) | instid1(VALU_DEP_1)
	v_dual_cndmask_b32 v34, v35, v34 :: v_dual_mov_b32 v35, 0
	v_cvt_pk_bf8_f32 v35, v34, v34
	s_delay_alu instid0(VALU_DEP_1) | instskip(SKIP_1) | instid1(VALU_DEP_2)
	v_lshlrev_b32_e32 v34, 24, v35
	v_lshrrev_b32_e32 v35, 24, v16
	v_or3_b32 v27, v34, v27, v32
	v_and_b32_e32 v32, 0xff, v20
	v_bfe_u32 v34, v16, 8, 8
	v_bfe_u32 v16, v16, 16, 8
	s_delay_alu instid0(VALU_DEP_3) | instskip(NEXT) | instid1(VALU_DEP_3)
	v_cvt_f32_bf8_e32 v32, v32
	v_cvt_f32_bf8_e32 v34, v34
	s_delay_alu instid0(VALU_DEP_3) | instskip(NEXT) | instid1(VALU_DEP_3)
	v_cvt_f32_bf8_e32 v16, v16
	v_mul_f32_e32 v32, v32, v33
	s_delay_alu instid0(VALU_DEP_1) | instskip(SKIP_2) | instid1(VALU_DEP_1)
	v_cmp_nlg_f32_e64 vcc_lo, 0x7f800000, |v32|
	v_med3_num_f32 v33, v32, s89, 0xc7600000
	s_wait_alu 0xfffd
	v_dual_cndmask_b32 v32, v33, v32 :: v_dual_mov_b32 v33, 0
	s_delay_alu instid0(VALU_DEP_1) | instskip(SKIP_1) | instid1(VALU_DEP_1)
	v_cvt_pk_bf8_f32 v33, v32, v32
	v_bfe_u32 v32, v20, 8, 8
	v_cvt_f32_bf8_e32 v32, v32
	s_delay_alu instid0(VALU_DEP_1) | instskip(NEXT) | instid1(VALU_DEP_1)
	v_mul_f32_e32 v32, v32, v34
	v_cmp_nlg_f32_e64 vcc_lo, 0x7f800000, |v32|
	v_med3_num_f32 v34, v32, s89, 0xc7600000
	s_wait_alu 0xfffd
	s_delay_alu instid0(VALU_DEP_1) | instskip(SKIP_1) | instid1(VALU_DEP_1)
	v_cndmask_b32_e32 v32, v34, v32, vcc_lo
	v_mov_b32_e32 v34, 0
	v_cvt_pk_bf8_f32 v34, v32, v32
	s_delay_alu instid0(VALU_DEP_1) | instskip(SKIP_2) | instid1(VALU_DEP_3)
	v_lshlrev_b32_e32 v32, 8, v34
	v_lshrrev_b32_e32 v34, 24, v20
	v_bfe_u32 v20, v20, 16, 8
	v_perm_b32 v32, v32, v33, 0xc0c0500
	v_bfe_u32 v33, v17, 8, 8
	s_delay_alu instid0(VALU_DEP_3) | instskip(NEXT) | instid1(VALU_DEP_2)
	v_cvt_f32_bf8_e32 v20, v20
	v_cvt_f32_bf8_e32 v33, v33
	s_delay_alu instid0(VALU_DEP_2) | instskip(NEXT) | instid1(VALU_DEP_1)
	v_mul_f32_e32 v16, v20, v16
	v_cmp_nlg_f32_e64 vcc_lo, 0x7f800000, |v16|
	v_med3_num_f32 v20, v16, s89, 0xc7600000
	s_wait_alu 0xfffd
	s_delay_alu instid0(VALU_DEP_1) | instskip(SKIP_1) | instid1(VALU_DEP_1)
	v_cndmask_b32_e32 v16, v20, v16, vcc_lo
	v_mov_b32_e32 v20, 0
	v_cvt_pk_bf8_f32 v20, v16, v16
	s_delay_alu instid0(VALU_DEP_1) | instskip(SKIP_2) | instid1(VALU_DEP_3)
	v_and_b32_e32 v16, 0xff, v20
	v_cvt_f32_bf8_e32 v20, v34
	v_cvt_f32_bf8_e32 v34, v35
	v_lshlrev_b32_e32 v16, 16, v16
	s_delay_alu instid0(VALU_DEP_2) | instskip(NEXT) | instid1(VALU_DEP_1)
	v_mul_f32_e32 v20, v20, v34
	v_cmp_nlg_f32_e64 vcc_lo, 0x7f800000, |v20|
	v_med3_num_f32 v34, v20, s89, 0xc7600000
	s_wait_alu 0xfffd
	s_delay_alu instid0(VALU_DEP_1) | instskip(SKIP_1) | instid1(VALU_DEP_1)
	v_cndmask_b32_e32 v20, v34, v20, vcc_lo
	v_mov_b32_e32 v34, 0
	v_cvt_pk_bf8_f32 v34, v20, v20
	s_delay_alu instid0(VALU_DEP_1) | instskip(SKIP_1) | instid1(VALU_DEP_2)
	v_lshlrev_b32_e32 v20, 24, v34
	v_lshrrev_b32_e32 v34, 24, v17
	v_or3_b32 v16, v20, v16, v32
	v_and_b32_e32 v20, 0xff, v21
	v_and_b32_e32 v32, 0xff, v17
	v_bfe_u32 v17, v17, 16, 8
	s_delay_alu instid0(VALU_DEP_3) | instskip(NEXT) | instid1(VALU_DEP_3)
	v_cvt_f32_bf8_e32 v20, v20
	v_cvt_f32_bf8_e32 v32, v32
	s_delay_alu instid0(VALU_DEP_3) | instskip(NEXT) | instid1(VALU_DEP_2)
	v_cvt_f32_bf8_e32 v17, v17
	v_mul_f32_e32 v20, v20, v32
	s_delay_alu instid0(VALU_DEP_1) | instskip(SKIP_2) | instid1(VALU_DEP_1)
	v_cmp_nlg_f32_e64 vcc_lo, 0x7f800000, |v20|
	v_med3_num_f32 v32, v20, s89, 0xc7600000
	s_wait_alu 0xfffd
	v_cndmask_b32_e32 v20, v32, v20, vcc_lo
	v_mov_b32_e32 v32, 0
	s_delay_alu instid0(VALU_DEP_1) | instskip(SKIP_1) | instid1(VALU_DEP_1)
	v_cvt_pk_bf8_f32 v32, v20, v20
	v_bfe_u32 v20, v21, 8, 8
	v_cvt_f32_bf8_e32 v20, v20
	s_delay_alu instid0(VALU_DEP_1) | instskip(NEXT) | instid1(VALU_DEP_1)
	v_mul_f32_e32 v20, v20, v33
	v_cmp_nlg_f32_e64 vcc_lo, 0x7f800000, |v20|
	v_med3_num_f32 v33, v20, s89, 0xc7600000
	s_wait_alu 0xfffd
	s_delay_alu instid0(VALU_DEP_1) | instskip(NEXT) | instid1(VALU_DEP_1)
	v_dual_cndmask_b32 v20, v33, v20 :: v_dual_mov_b32 v33, 0
	v_cvt_pk_bf8_f32 v33, v20, v20
	s_delay_alu instid0(VALU_DEP_1) | instskip(SKIP_2) | instid1(VALU_DEP_3)
	v_lshlrev_b32_e32 v20, 8, v33
	v_lshrrev_b32_e32 v33, 24, v21
	v_bfe_u32 v21, v21, 16, 8
	v_perm_b32 v20, v20, v32, 0xc0c0500
	v_bfe_u32 v32, v18, 8, 8
	s_delay_alu instid0(VALU_DEP_3) | instskip(NEXT) | instid1(VALU_DEP_2)
	v_cvt_f32_bf8_e32 v21, v21
	v_cvt_f32_bf8_e32 v32, v32
	s_delay_alu instid0(VALU_DEP_2) | instskip(NEXT) | instid1(VALU_DEP_1)
	v_mul_f32_e32 v17, v21, v17
	v_cmp_nlg_f32_e64 vcc_lo, 0x7f800000, |v17|
	v_med3_num_f32 v21, v17, s89, 0xc7600000
	s_wait_alu 0xfffd
	s_delay_alu instid0(VALU_DEP_1) | instskip(SKIP_1) | instid1(VALU_DEP_1)
	v_cndmask_b32_e32 v17, v21, v17, vcc_lo
	v_mov_b32_e32 v21, 0
	v_cvt_pk_bf8_f32 v21, v17, v17
	s_delay_alu instid0(VALU_DEP_1) | instskip(SKIP_2) | instid1(VALU_DEP_3)
	v_and_b32_e32 v17, 0xff, v21
	v_cvt_f32_bf8_e32 v21, v33
	v_cvt_f32_bf8_e32 v33, v34
	v_lshlrev_b32_e32 v17, 16, v17
	s_delay_alu instid0(VALU_DEP_2) | instskip(NEXT) | instid1(VALU_DEP_1)
	v_mul_f32_e32 v21, v21, v33
	v_cmp_nlg_f32_e64 vcc_lo, 0x7f800000, |v21|
	v_med3_num_f32 v33, v21, s89, 0xc7600000
	s_wait_alu 0xfffd
	s_delay_alu instid0(VALU_DEP_1) | instskip(SKIP_1) | instid1(VALU_DEP_1)
	v_cndmask_b32_e32 v21, v33, v21, vcc_lo
	v_mov_b32_e32 v33, 0
	v_cvt_pk_bf8_f32 v33, v21, v21
	s_delay_alu instid0(VALU_DEP_1) | instskip(SKIP_1) | instid1(VALU_DEP_2)
	v_lshlrev_b32_e32 v21, 24, v33
	v_lshrrev_b32_e32 v33, 24, v18
	v_or3_b32 v17, v21, v17, v20
	v_and_b32_e32 v20, 0xff, v22
	v_and_b32_e32 v21, 0xff, v18
	v_bfe_u32 v18, v18, 16, 8
	s_delay_alu instid0(VALU_DEP_3) | instskip(NEXT) | instid1(VALU_DEP_3)
	v_cvt_f32_bf8_e32 v20, v20
	v_cvt_f32_bf8_e32 v21, v21
	s_delay_alu instid0(VALU_DEP_3) | instskip(NEXT) | instid1(VALU_DEP_2)
	v_cvt_f32_bf8_e32 v18, v18
	v_mul_f32_e32 v20, v20, v21
	s_delay_alu instid0(VALU_DEP_1) | instskip(SKIP_2) | instid1(VALU_DEP_1)
	v_cmp_nlg_f32_e64 vcc_lo, 0x7f800000, |v20|
	v_med3_num_f32 v21, v20, s89, 0xc7600000
	s_wait_alu 0xfffd
	v_dual_cndmask_b32 v20, v21, v20 :: v_dual_mov_b32 v21, 0
	s_delay_alu instid0(VALU_DEP_1) | instskip(SKIP_1) | instid1(VALU_DEP_1)
	v_cvt_pk_bf8_f32 v21, v20, v20
	v_bfe_u32 v20, v22, 8, 8
	v_cvt_f32_bf8_e32 v20, v20
	s_delay_alu instid0(VALU_DEP_1) | instskip(NEXT) | instid1(VALU_DEP_1)
	v_mul_f32_e32 v20, v20, v32
	v_cmp_nlg_f32_e64 vcc_lo, 0x7f800000, |v20|
	v_med3_num_f32 v32, v20, s89, 0xc7600000
	s_wait_alu 0xfffd
	s_delay_alu instid0(VALU_DEP_1) | instskip(SKIP_1) | instid1(VALU_DEP_1)
	v_cndmask_b32_e32 v20, v32, v20, vcc_lo
	v_mov_b32_e32 v32, 0
	v_cvt_pk_bf8_f32 v32, v20, v20
	s_delay_alu instid0(VALU_DEP_1) | instskip(SKIP_2) | instid1(VALU_DEP_3)
	v_lshlrev_b32_e32 v20, 8, v32
	v_lshrrev_b32_e32 v32, 24, v22
	v_bfe_u32 v22, v22, 16, 8
	v_perm_b32 v20, v20, v21, 0xc0c0500
	v_and_b32_e32 v21, 0xff, v19
	s_delay_alu instid0(VALU_DEP_3) | instskip(NEXT) | instid1(VALU_DEP_2)
	v_cvt_f32_bf8_e32 v22, v22
	v_cvt_f32_bf8_e32 v21, v21
	s_delay_alu instid0(VALU_DEP_2) | instskip(NEXT) | instid1(VALU_DEP_1)
	v_mul_f32_e32 v18, v22, v18
	v_cmp_nlg_f32_e64 vcc_lo, 0x7f800000, |v18|
	v_med3_num_f32 v22, v18, s89, 0xc7600000
	s_wait_alu 0xfffd
	s_delay_alu instid0(VALU_DEP_1) | instskip(SKIP_1) | instid1(VALU_DEP_1)
	v_cndmask_b32_e32 v18, v22, v18, vcc_lo
	v_mov_b32_e32 v22, 0
	v_cvt_pk_bf8_f32 v22, v18, v18
	s_delay_alu instid0(VALU_DEP_1) | instskip(SKIP_2) | instid1(VALU_DEP_3)
	v_and_b32_e32 v18, 0xff, v22
	v_cvt_f32_bf8_e32 v22, v32
	v_cvt_f32_bf8_e32 v32, v33
	v_lshlrev_b32_e32 v18, 16, v18
	s_delay_alu instid0(VALU_DEP_2) | instskip(NEXT) | instid1(VALU_DEP_1)
	v_mul_f32_e32 v22, v22, v32
	v_cmp_nlg_f32_e64 vcc_lo, 0x7f800000, |v22|
	v_med3_num_f32 v32, v22, s89, 0xc7600000
	s_wait_alu 0xfffd
	s_delay_alu instid0(VALU_DEP_1) | instskip(SKIP_1) | instid1(VALU_DEP_1)
	v_cndmask_b32_e32 v22, v32, v22, vcc_lo
	v_mov_b32_e32 v32, 0
	v_cvt_pk_bf8_f32 v32, v22, v22
	s_delay_alu instid0(VALU_DEP_1) | instskip(SKIP_1) | instid1(VALU_DEP_2)
	v_lshlrev_b32_e32 v22, 24, v32
	v_lshrrev_b32_e32 v32, 24, v19
	v_or3_b32 v18, v22, v18, v20
	v_and_b32_e32 v20, 0xff, v23
	v_bfe_u32 v22, v19, 8, 8
	v_bfe_u32 v19, v19, 16, 8
	s_delay_alu instid0(VALU_DEP_3) | instskip(NEXT) | instid1(VALU_DEP_3)
	v_cvt_f32_bf8_e32 v20, v20
	v_cvt_f32_bf8_e32 v22, v22
	s_delay_alu instid0(VALU_DEP_3) | instskip(NEXT) | instid1(VALU_DEP_3)
	v_cvt_f32_bf8_e32 v19, v19
	v_mul_f32_e32 v20, v20, v21
	s_delay_alu instid0(VALU_DEP_1) | instskip(SKIP_2) | instid1(VALU_DEP_1)
	v_cmp_nlg_f32_e64 vcc_lo, 0x7f800000, |v20|
	v_med3_num_f32 v21, v20, s89, 0xc7600000
	s_wait_alu 0xfffd
	v_dual_cndmask_b32 v21, v21, v20 :: v_dual_mov_b32 v20, 0
	s_delay_alu instid0(VALU_DEP_1) | instskip(SKIP_1) | instid1(VALU_DEP_1)
	v_cvt_pk_bf8_f32 v20, v21, v21
	v_bfe_u32 v21, v23, 8, 8
	v_cvt_f32_bf8_e32 v21, v21
	s_delay_alu instid0(VALU_DEP_1) | instskip(NEXT) | instid1(VALU_DEP_1)
	v_mul_f32_e32 v21, v21, v22
	v_cmp_nlg_f32_e64 vcc_lo, 0x7f800000, |v21|
	v_med3_num_f32 v22, v21, s89, 0xc7600000
	s_wait_alu 0xfffd
	s_delay_alu instid0(VALU_DEP_1) | instskip(NEXT) | instid1(VALU_DEP_1)
	v_dual_cndmask_b32 v21, v22, v21 :: v_dual_mov_b32 v22, 0
	v_cvt_pk_bf8_f32 v22, v21, v21
	s_delay_alu instid0(VALU_DEP_1) | instskip(SKIP_2) | instid1(VALU_DEP_3)
	v_lshlrev_b32_e32 v21, 8, v22
	v_lshrrev_b32_e32 v22, 24, v23
	v_bfe_u32 v23, v23, 16, 8
	v_perm_b32 v20, v21, v20, 0xc0c0500
	s_delay_alu instid0(VALU_DEP_3) | instskip(NEXT) | instid1(VALU_DEP_3)
	v_cvt_f32_bf8_e32 v22, v22
	v_cvt_f32_bf8_e32 v23, v23
	s_delay_alu instid0(VALU_DEP_1) | instskip(NEXT) | instid1(VALU_DEP_1)
	v_mul_f32_e32 v19, v23, v19
	v_cmp_nlg_f32_e64 vcc_lo, 0x7f800000, |v19|
	v_med3_num_f32 v23, v19, s89, 0xc7600000
	s_wait_alu 0xfffd
	s_delay_alu instid0(VALU_DEP_1) | instskip(SKIP_1) | instid1(VALU_DEP_1)
	v_cndmask_b32_e32 v19, v23, v19, vcc_lo
	v_mov_b32_e32 v23, 0
	v_cvt_pk_bf8_f32 v23, v19, v19
	s_delay_alu instid0(VALU_DEP_1) | instskip(SKIP_1) | instid1(VALU_DEP_2)
	v_and_b32_e32 v19, 0xff, v23
	v_cvt_f32_bf8_e32 v23, v32
	v_lshlrev_b32_e32 v19, 16, v19
	s_delay_alu instid0(VALU_DEP_2) | instskip(NEXT) | instid1(VALU_DEP_1)
	v_mul_f32_e32 v22, v22, v23
	v_cmp_nlg_f32_e64 vcc_lo, 0x7f800000, |v22|
	v_med3_num_f32 v23, v22, s89, 0xc7600000
	s_wait_alu 0xfffd
	s_delay_alu instid0(VALU_DEP_1) | instskip(SKIP_3) | instid1(VALU_DEP_3)
	v_dual_cndmask_b32 v22, v23, v22 :: v_dual_mov_b32 v23, 0
	v_add_co_u32 v128, vcc_lo, v128, v151
	s_wait_alu 0xfffd
	v_add_co_ci_u32_e64 v129, null, 0, v129, vcc_lo
	v_cvt_pk_bf8_f32 v23, v22, v22
	v_add_co_u32 v130, vcc_lo, v130, v151
	s_wait_alu 0xfffd
	v_add_co_ci_u32_e64 v131, null, 0, v131, vcc_lo
	s_delay_alu instid0(VALU_DEP_3) | instskip(NEXT) | instid1(VALU_DEP_1)
	v_lshlrev_b32_e32 v22, 24, v23
	v_or3_b32 v19, v22, v19, v20
	s_clause 0x3
	global_store_b128 v[116:117], v[8:11], off th:TH_STORE_NT
	global_store_b128 v[116:117], v[12:15], off offset:512 th:TH_STORE_NT
	global_store_b128 v[116:117], v[24:27], off offset:1024 th:TH_STORE_NT
	;; [unrolled: 1-line block ×3, first 2 shown]
	s_clause 0x3
	global_store_b128 v[118:119], v[8:11], off th:TH_STORE_NT
	global_store_b128 v[118:119], v[12:15], off offset:512 th:TH_STORE_NT
	global_store_b128 v[118:119], v[24:27], off offset:1024 th:TH_STORE_NT
	;; [unrolled: 1-line block ×3, first 2 shown]
	v_add_co_u32 v116, vcc_lo, v116, v151
	s_wait_alu 0xfffd
	v_add_co_ci_u32_e64 v117, null, 0, v117, vcc_lo
	v_add_co_u32 v118, vcc_lo, v118, v151
	s_wait_alu 0xfffd
	v_add_co_ci_u32_e64 v119, null, 0, v119, vcc_lo
	v_cmp_gt_i32_e32 vcc_lo, 1, v43
	s_wait_alu 0xfffe
	s_or_b32 s14, vcc_lo, s14
	s_wait_alu 0xfffe
	s_and_not1_b32 exec_lo, exec_lo, s14
	s_cbranch_execnz .LBB6_577
; %bb.578:                              ;   in Loop: Header=BB6_495 Depth=2
	s_or_b32 exec_lo, exec_lo, s14
.LBB6_579:                              ;   in Loop: Header=BB6_495 Depth=2
	s_wait_alu 0xfffe
	s_or_b32 exec_lo, exec_lo, s13
	v_dual_mov_b32 v16, 0 :: v_dual_lshlrev_b32 v19, 11, v44
	s_mov_b32 s13, 0
	s_mov_b32 s18, exec_lo
                                        ; implicit-def: $vgpr17
                                        ; implicit-def: $vgpr18
                                        ; implicit-def: $vgpr8
	s_delay_alu instid0(VALU_DEP_1)
	v_cmpx_ne_u32_e64 v42, v19
	s_cbranch_execz .LBB6_589
; %bb.580:                              ;   in Loop: Header=BB6_495 Depth=2
	v_lshlrev_b32_e32 v8, 5, v43
	v_sub_nc_u32_e32 v10, v42, v19
	s_mov_b32 s19, exec_lo
	s_delay_alu instid0(VALU_DEP_2) | instskip(NEXT) | instid1(VALU_DEP_2)
	v_sub_nc_u32_e32 v8, v165, v8
	v_ashrrev_i32_e32 v11, 31, v10
	s_delay_alu instid0(VALU_DEP_2) | instskip(NEXT) | instid1(VALU_DEP_2)
	v_ashrrev_i32_e32 v9, 31, v8
	v_lshrrev_b32_e32 v11, 23, v11
	s_delay_alu instid0(VALU_DEP_2) | instskip(NEXT) | instid1(VALU_DEP_2)
	v_lshrrev_b32_e32 v9, 27, v9
	v_add_nc_u32_e32 v11, v10, v11
	s_delay_alu instid0(VALU_DEP_2) | instskip(NEXT) | instid1(VALU_DEP_2)
	v_add_nc_u32_e32 v9, v8, v9
	v_and_b32_e32 v20, 0xfffffe00, v11
	v_ashrrev_i32_e32 v11, 9, v11
	s_delay_alu instid0(VALU_DEP_3) | instskip(NEXT) | instid1(VALU_DEP_3)
	v_and_b32_e32 v12, 0xffffffe0, v9
	v_sub_nc_u32_e32 v22, v10, v20
	v_ashrrev_i32_e32 v9, 5, v9
	s_delay_alu instid0(VALU_DEP_3) | instskip(NEXT) | instid1(VALU_DEP_3)
	v_sub_nc_u32_e32 v21, v8, v12
	v_cmp_lt_i32_e64 s13, 15, v22
	s_delay_alu instid0(VALU_DEP_2) | instskip(SKIP_1) | instid1(VALU_DEP_2)
	v_lshlrev_b32_e32 v8, 4, v21
	s_wait_alu 0xf1fe
	v_add_co_ci_u32_e64 v11, null, 0, v11, s13
	s_delay_alu instid0(VALU_DEP_2) | instskip(NEXT) | instid1(VALU_DEP_2)
	v_lshl_add_u32 v8, v9, 9, v8
	v_sub_nc_u32_e32 v23, v11, v9
	s_delay_alu instid0(VALU_DEP_2) | instskip(NEXT) | instid1(VALU_DEP_1)
	v_sub_nc_u32_e32 v16, v10, v8
	v_cmpx_lt_i32_e32 15, v16
	s_cbranch_execz .LBB6_586
; %bb.581:                              ;   in Loop: Header=BB6_495 Depth=2
	s_trap 2
	ds_load_b64 v[9:10], v0
	v_add_nc_u32_e32 v8, v8, v19
	s_mov_b32 s20, 0
	s_delay_alu instid0(VALU_DEP_1) | instskip(SKIP_2) | instid1(VALU_DEP_2)
	v_ashrrev_i32_e32 v11, 31, v8
	v_add_co_u32 v17, vcc_lo, v8, v112
	s_wait_alu 0xfffd
	v_add_co_ci_u32_e64 v18, null, v11, v113, vcc_lo
	v_add_co_u32 v24, vcc_lo, v8, v114
	s_wait_alu 0xfffd
	v_add_co_ci_u32_e64 v25, null, v11, v115, vcc_lo
	;; [unrolled: 3-line block ×3, first 2 shown]
	s_wait_dscnt 0x0
	v_add_co_u32 v14, vcc_lo, v9, v8
	s_wait_alu 0xfffd
	v_add_co_ci_u32_e64 v15, null, v10, v11, vcc_lo
.LBB6_582:                              ;   Parent Loop BB6_47 Depth=1
                                        ;     Parent Loop BB6_495 Depth=2
                                        ; =>    This Loop Header: Depth=3
                                        ;         Child Loop BB6_583 Depth 4
	global_load_b128 v[8:11], v[14:15], off th:TH_LOAD_NT
	global_load_b128 v[32:35], v[12:13], off th:TH_LOAD_NT
	v_dual_mov_b32 v36, 0 :: v_dual_mov_b32 v37, 0
	v_dual_mov_b32 v38, 0 :: v_dual_mov_b32 v39, 0
	;; [unrolled: 1-line block ×8, first 2 shown]
	s_mov_b64 s[16:17], 0
	s_mov_b32 s21, -1
	s_wait_loadcnt 0x1
	v_bfe_u32 v131, v8, 8, 8
	v_lshrrev_b32_e32 v43, 24, v8
	s_wait_loadcnt 0x0
	v_bfe_u32 v62, v32, 8, 8
	v_lshrrev_b32_e32 v63, 24, v32
	v_lshrrev_b32_e32 v46, 24, v9
	v_cvt_f32_bf8_e32 v131, v131
	v_cvt_f32_bf8_e32 v43, v43
	;; [unrolled: 1-line block ×3, first 2 shown]
	v_and_b32_e32 v130, 0xff, v8
	v_bfe_u32 v8, v8, 16, 8
	v_cvt_f32_bf8_e32 v63, v63
	v_and_b32_e32 v61, 0xff, v32
	v_bfe_u32 v32, v32, 16, 8
	v_lshrrev_b32_e32 v74, 24, v33
	v_cvt_f32_bf8_e32 v8, v8
	v_mul_f32_e32 v131, v131, v62
	v_cvt_f32_bf8_e32 v130, v130
	v_cvt_f32_bf8_e32 v32, v32
	v_and_b32_e32 v75, 0xff, v34
	v_bfe_u32 v45, v9, 8, 8
	v_bfe_u32 v73, v33, 8, 8
	v_cvt_f32_bf8_e32 v46, v46
	v_mul_f32_e32 v8, v8, v32
	v_mul_f32_e32 v32, v43, v63
	v_cvt_f32_bf8_e32 v61, v61
	v_and_b32_e32 v47, 0xff, v10
	v_cvt_f32_bf8_e32 v74, v74
	v_and_b32_e32 v44, 0xff, v9
	v_bfe_u32 v9, v9, 16, 8
	v_cvt_f32_bf8_e32 v75, v75
	v_mul_f32_e32 v130, v130, v61
	v_cvt_f32_bf8_e32 v47, v47
	v_and_b32_e32 v72, 0xff, v33
	v_bfe_u32 v33, v33, 16, 8
	v_cvt_f32_bf8_e32 v9, v9
	v_bfe_u32 v56, v10, 8, 8
	v_lshrrev_b32_e32 v57, 24, v10
	v_bfe_u32 v10, v10, 16, 8
	v_cvt_f32_bf8_e32 v33, v33
	v_bfe_u32 v76, v34, 8, 8
	v_lshrrev_b32_e32 v77, 24, v34
	v_bfe_u32 v34, v34, 16, 8
	s_delay_alu instid0(VALU_DEP_4)
	v_dual_mul_f32 v9, v9, v33 :: v_dual_and_b32 v78, 0xff, v35
	v_cvt_f32_bf8_e32 v72, v72
	v_mul_f32_e32 v33, v46, v74
	v_cvt_f32_bf8_e32 v44, v44
	v_and_b32_e32 v58, 0xff, v11
	v_lshrrev_b32_e32 v60, 24, v11
	v_lshrrev_b32_e32 v88, 24, v35
	v_cvt_f32_bf8_e32 v45, v45
	v_cvt_f32_bf8_e32 v10, v10
	;; [unrolled: 1-line block ×7, first 2 shown]
	v_mul_f32_e32 v43, v44, v72
	v_cvt_f32_bf8_e32 v58, v58
	v_bfe_u32 v59, v11, 8, 8
	v_bfe_u32 v79, v35, 8, 8
	v_cvt_f32_bf8_e32 v60, v60
	v_cvt_f32_bf8_e32 v88, v88
	v_dual_mul_f32 v44, v45, v73 :: v_dual_mul_f32 v45, v47, v75
	v_mul_f32_e32 v10, v10, v34
	v_mul_f32_e32 v47, v58, v78
	v_med3_num_f32 v58, v131, s89, 0xc7600000
	v_mul_f32_e32 v34, v57, v77
	v_med3_num_f32 v57, v130, s89, 0xc7600000
	v_cmp_nlg_f32_e64 vcc_lo, 0x7f800000, |v130|
	v_bfe_u32 v11, v11, 16, 8
	v_bfe_u32 v35, v35, 16, 8
	v_cvt_f32_bf8_e32 v56, v56
	v_cvt_f32_bf8_e32 v59, v59
	;; [unrolled: 1-line block ×4, first 2 shown]
	v_med3_num_f32 v63, v9, s89, 0xc7600000
	s_wait_alu 0xfffd
	v_cndmask_b32_e32 v130, v57, v130, vcc_lo
	v_cmp_nlg_f32_e64 vcc_lo, 0x7f800000, |v131|
	v_cvt_f32_bf8_e32 v11, v11
	v_cvt_f32_bf8_e32 v35, v35
	v_mul_f32_e32 v46, v56, v76
	v_med3_num_f32 v72, v33, s89, 0xc7600000
	v_mul_f32_e32 v56, v59, v79
	v_med3_num_f32 v59, v8, s89, 0xc7600000
	s_wait_alu 0xfffd
	v_cndmask_b32_e32 v131, v58, v131, vcc_lo
	v_cmp_nlg_f32_e64 vcc_lo, 0x7f800000, |v8|
	v_mul_f32_e32 v11, v11, v35
	v_mul_f32_e32 v35, v60, v88
	v_med3_num_f32 v60, v32, s89, 0xc7600000
	v_med3_num_f32 v61, v43, s89, 0xc7600000
	s_wait_alu 0xfffd
	v_cndmask_b32_e32 v8, v59, v8, vcc_lo
	v_cmp_nlg_f32_e64 vcc_lo, 0x7f800000, |v32|
	v_med3_num_f32 v73, v45, s89, 0xc7600000
	v_med3_num_f32 v62, v44, s89, 0xc7600000
	;; [unrolled: 1-line block ×4, first 2 shown]
	s_wait_alu 0xfffd
	v_cndmask_b32_e32 v32, v60, v32, vcc_lo
	v_cmp_nlg_f32_e64 vcc_lo, 0x7f800000, |v43|
	v_med3_num_f32 v75, v10, s89, 0xc7600000
	v_med3_num_f32 v79, v11, s89, 0xc7600000
	;; [unrolled: 1-line block ×4, first 2 shown]
	s_wait_alu 0xfffd
	v_cndmask_b32_e32 v43, v61, v43, vcc_lo
	v_cmp_nlg_f32_e64 vcc_lo, 0x7f800000, |v44|
	v_cvt_pk_bf8_f32 v36, v8, v8
	v_cvt_pk_bf8_f32 v27, v131, v131
	s_delay_alu instid0(VALU_DEP_4)
	v_cvt_pk_bf8_f32 v38, v43, v43
	s_wait_alu 0xfffd
	v_cndmask_b32_e32 v44, v62, v44, vcc_lo
	v_cmp_nlg_f32_e64 vcc_lo, 0x7f800000, |v9|
	s_wait_alu 0xfffd
	v_dual_cndmask_b32 v9, v63, v9 :: v_dual_lshlrev_b32 v8, 8, v27
	v_cmp_nlg_f32_e64 vcc_lo, 0x7f800000, |v33|
	v_cvt_pk_bf8_f32 v26, v130, v130
	s_delay_alu instid0(VALU_DEP_3)
	v_cvt_pk_bf8_f32 v48, v9, v9
	s_wait_alu 0xfffd
	v_cndmask_b32_e32 v33, v72, v33, vcc_lo
	v_cmp_nlg_f32_e64 vcc_lo, 0x7f800000, |v45|
	v_med3_num_f32 v78, v56, s89, 0xc7600000
	v_and_b32_e32 v9, 0xff, v36
	v_and_b32_e32 v27, 0xff, v48
	v_cvt_pk_bf8_f32 v49, v33, v33
	s_wait_alu 0xfffd
	v_cndmask_b32_e32 v45, v73, v45, vcc_lo
	v_cmp_nlg_f32_e64 vcc_lo, 0x7f800000, |v46|
	v_cvt_pk_bf8_f32 v37, v32, v32
	v_lshlrev_b32_e32 v9, 16, v9
	v_lshlrev_b32_e32 v32, 24, v49
	v_cvt_pk_bf8_f32 v50, v45, v45
	s_wait_alu 0xfffd
	v_cndmask_b32_e32 v46, v74, v46, vcc_lo
	v_cmp_nlg_f32_e64 vcc_lo, 0x7f800000, |v10|
	v_perm_b32 v8, v8, v26, 0xc0c0500
	v_lshlrev_b32_e32 v26, 16, v27
	s_wait_alu 0xfffd
	v_cndmask_b32_e32 v10, v75, v10, vcc_lo
	v_cmp_nlg_f32_e64 vcc_lo, 0x7f800000, |v34|
	s_wait_alu 0xfffd
	v_cndmask_b32_e32 v34, v76, v34, vcc_lo
	v_cmp_nlg_f32_e64 vcc_lo, 0x7f800000, |v47|
	s_delay_alu instid0(VALU_DEP_2) | instskip(SKIP_4) | instid1(VALU_DEP_3)
	v_cvt_pk_bf8_f32 v117, v34, v34
	s_wait_alu 0xfffd
	v_cndmask_b32_e32 v47, v77, v47, vcc_lo
	v_cmp_nlg_f32_e64 vcc_lo, 0x7f800000, |v56|
	v_cvt_pk_bf8_f32 v39, v44, v44
	v_cvt_pk_bf8_f32 v118, v47, v47
	s_wait_alu 0xfffd
	v_cndmask_b32_e32 v56, v78, v56, vcc_lo
	v_cmp_nlg_f32_e64 vcc_lo, 0x7f800000, |v11|
	s_wait_alu 0xfffd
	v_cndmask_b32_e32 v11, v79, v11, vcc_lo
	v_cmp_nlg_f32_e64 vcc_lo, 0x7f800000, |v35|
	v_cvt_pk_bf8_f32 v51, v46, v46
	s_delay_alu instid0(VALU_DEP_3)
	v_cvt_pk_bf8_f32 v128, v11, v11
	s_wait_alu 0xfffd
	v_cndmask_b32_e32 v35, v88, v35, vcc_lo
	v_cvt_pk_bf8_f32 v116, v10, v10
	v_lshlrev_b32_e32 v11, 8, v39
	v_cvt_pk_bf8_f32 v119, v56, v56
	v_lshlrev_b32_e32 v10, 24, v37
	v_cvt_pk_bf8_f32 v129, v35, v35
	v_lshlrev_b32_e32 v33, 8, v51
	v_and_b32_e32 v34, 0xff, v116
	v_lshlrev_b32_e32 v36, 8, v119
	v_and_b32_e32 v37, 0xff, v128
	v_lshlrev_b32_e32 v35, 24, v117
	v_lshlrev_b32_e32 v39, 24, v129
	v_perm_b32 v11, v11, v38, 0xc0c0500
	v_lshlrev_b32_e32 v27, 16, v34
	v_perm_b32 v33, v33, v50, 0xc0c0500
	;; [unrolled: 2-line block ×3, first 2 shown]
	v_or3_b32 v8, v10, v9, v8
	v_or3_b32 v9, v32, v26, v11
	;; [unrolled: 1-line block ×3, first 2 shown]
	s_delay_alu instid0(VALU_DEP_4)
	v_or3_b32 v11, v39, v34, v36
.LBB6_583:                              ;   Parent Loop BB6_47 Depth=1
                                        ;     Parent Loop BB6_495 Depth=2
                                        ;       Parent Loop BB6_582 Depth=3
                                        ; =>      This Inner Loop Header: Depth=4
	s_wait_alu 0xfffe
	s_cmp_eq_u32 s16, 1
	s_cselect_b32 vcc_lo, -1, 0
	s_cmp_eq_u32 s16, 0
	s_wait_alu 0xfffe
	v_dual_cndmask_b32 v27, v18, v25 :: v_dual_cndmask_b32 v26, v17, v24
	s_mov_b64 s[16:17], 1
	s_delay_alu instid0(VALU_DEP_1) | instskip(SKIP_1) | instid1(VALU_DEP_2)
	v_add_co_u32 v32, s14, 0x200, v26
	s_wait_alu 0xf1ff
	v_add_co_ci_u32_e64 v33, null, 0, v27, s14
	s_cselect_b32 s14, -1, 0
	s_and_b32 s15, exec_lo, s21
	v_dual_cndmask_b32 v24, v24, v32 :: v_dual_cndmask_b32 v25, v25, v33
	s_wait_alu 0xfffe
	v_cndmask_b32_e64 v18, v18, v33, s14
	v_cndmask_b32_e64 v17, v17, v32, s14
	s_mov_b32 s21, 0
	s_mov_b32 vcc_lo, s15
	global_store_b128 v[26:27], v[8:11], off th:TH_STORE_NT
	s_wait_alu 0xfffe
	s_cbranch_vccnz .LBB6_583
; %bb.584:                              ;   in Loop: Header=BB6_582 Depth=3
	v_add_co_u32 v12, vcc_lo, v12, v177
	v_sub_nc_u32_e32 v16, v16, v149
	s_wait_alu 0xfffd
	v_add_co_ci_u32_e64 v13, null, v13, v178, vcc_lo
	v_add_co_u32 v14, vcc_lo, v14, v177
	s_wait_alu 0xfffd
	v_add_co_ci_u32_e64 v15, null, v15, v178, vcc_lo
	v_add_co_u32 v17, vcc_lo, v17, v161
	s_wait_alu 0xfffd
	v_add_co_ci_u32_e64 v18, null, v18, v164, vcc_lo
	v_cmp_gt_i32_e32 vcc_lo, 16, v16
	v_add_co_u32 v24, s14, v24, v161
	s_wait_alu 0xf1ff
	v_add_co_ci_u32_e64 v25, null, v25, v164, s14
	v_sub_nc_u32_e32 v23, v23, v135
	s_or_b32 s20, vcc_lo, s20
	s_wait_alu 0xfffe
	s_and_not1_b32 exec_lo, exec_lo, s20
	s_cbranch_execnz .LBB6_582
; %bb.585:                              ;   in Loop: Header=BB6_495 Depth=2
	s_or_b32 exec_lo, exec_lo, s20
.LBB6_586:                              ;   in Loop: Header=BB6_495 Depth=2
	s_delay_alu instid0(SALU_CYCLE_1) | instskip(SKIP_3) | instid1(VALU_DEP_1)
	s_or_b32 exec_lo, exec_lo, s19
	v_dual_mov_b32 v16, 0 :: v_dual_and_b32 v9, 15, v42
	s_mov_b32 s14, 0
	s_mov_b32 s15, exec_lo
                                        ; implicit-def: $vgpr18
                                        ; implicit-def: $vgpr8
	v_cndmask_b32_e64 v17, v22, v9, s13
	s_delay_alu instid0(VALU_DEP_1)
	v_cmpx_ne_u32_e32 0, v17
	s_cbranch_execz .LBB6_588
; %bb.587:                              ;   in Loop: Header=BB6_495 Depth=2
	v_cmp_lt_i32_e32 vcc_lo, 0, v23
	v_sub_nc_u32_e32 v9, v22, v9
	s_mov_b32 s14, exec_lo
	s_wait_alu 0xfffd
	v_cndmask_b32_e32 v8, 0, v135, vcc_lo
	s_delay_alu instid0(VALU_DEP_2) | instskip(NEXT) | instid1(VALU_DEP_2)
	v_cndmask_b32_e64 v9, 0, v9, s13
	v_sub_nc_u32_e32 v8, v8, v23
	s_delay_alu instid0(VALU_DEP_2) | instskip(NEXT) | instid1(VALU_DEP_2)
	v_add3_u32 v16, v20, v19, v9
	v_lshl_add_u32 v18, v8, 5, v21
	s_delay_alu instid0(VALU_DEP_1) | instskip(NEXT) | instid1(VALU_DEP_1)
	v_ashrrev_i32_e32 v8, 31, v18
	v_lshrrev_b32_e32 v8, 27, v8
	s_delay_alu instid0(VALU_DEP_1) | instskip(NEXT) | instid1(VALU_DEP_1)
	v_add_nc_u32_e32 v8, v18, v8
	v_ashrrev_i32_e32 v8, 5, v8
.LBB6_588:                              ;   in Loop: Header=BB6_495 Depth=2
	s_wait_alu 0xfffe
	s_or_b32 exec_lo, exec_lo, s15
	s_delay_alu instid0(SALU_CYCLE_1)
	s_and_b32 s13, s14, exec_lo
.LBB6_589:                              ;   in Loop: Header=BB6_495 Depth=2
	s_wait_alu 0xfffe
	s_or_b32 exec_lo, exec_lo, s18
	s_and_saveexec_b32 s39, s13
	s_cbranch_execz .LBB6_600
.LBB6_590:                              ;   in Loop: Header=BB6_495 Depth=2
	v_ashrrev_i32_e32 v9, 31, v17
	s_mov_b32 s48, exec_lo
	s_delay_alu instid0(VALU_DEP_1) | instskip(NEXT) | instid1(VALU_DEP_1)
	v_lshrrev_b32_e32 v9, 22, v9
	v_add_nc_u32_e32 v9, v17, v9
	s_delay_alu instid0(VALU_DEP_1) | instskip(SKIP_1) | instid1(VALU_DEP_2)
	v_ashrrev_i32_e32 v21, 10, v9
	v_ashrrev_i32_e32 v9, 31, v18
	v_sub_nc_u32_e32 v19, v21, v8
	s_delay_alu instid0(VALU_DEP_2) | instskip(NEXT) | instid1(VALU_DEP_2)
	v_lshrrev_b32_e32 v20, 27, v9
	v_cmpx_lt_i32_e32 0, v19
	s_cbranch_execz .LBB6_594
; %bb.591:                              ;   in Loop: Header=BB6_495 Depth=2
	s_delay_alu instid0(VALU_DEP_2)
	v_add_nc_u32_e32 v9, v18, v20
	s_trap 2
	ds_load_b64 v[14:15], v0
	v_lshlrev_b32_e32 v8, 10, v8
	s_mov_b32 s49, 0
	v_and_b32_e32 v9, 0xffffffe0, v9
	s_delay_alu instid0(VALU_DEP_1) | instskip(NEXT) | instid1(VALU_DEP_1)
	v_sub_nc_u32_e32 v9, v18, v9
	v_add3_u32 v22, v16, v9, v8
	s_delay_alu instid0(VALU_DEP_1) | instskip(SKIP_2) | instid1(VALU_DEP_2)
	v_ashrrev_i32_e32 v23, 31, v22
	v_add_co_u32 v8, vcc_lo, v22, v112
	s_wait_alu 0xfffd
	v_add_co_ci_u32_e64 v9, null, v23, v113, vcc_lo
	v_add_co_u32 v10, vcc_lo, v22, v114
	s_wait_alu 0xfffd
	v_add_co_ci_u32_e64 v11, null, v23, v115, vcc_lo
	;; [unrolled: 3-line block ×3, first 2 shown]
	s_wait_dscnt 0x0
	v_add_co_u32 v14, vcc_lo, v14, v22
	s_wait_alu 0xfffd
	v_add_co_ci_u32_e64 v15, null, v15, v23, vcc_lo
.LBB6_592:                              ;   Parent Loop BB6_47 Depth=1
                                        ;     Parent Loop BB6_495 Depth=2
                                        ; =>    This Inner Loop Header: Depth=3
	flat_load_u8 v119, v[12:13] th:TH_LOAD_NT
	flat_load_u8 v106, v[14:15] th:TH_LOAD_NT
	flat_load_u8 v43, v[12:13] offset:32 th:TH_LOAD_NT
	flat_load_u8 v107, v[14:15] offset:32 th:TH_LOAD_NT
	;; [unrolled: 1-line block ×62, first 2 shown]
	v_dual_mov_b32 v22, 0 :: v_dual_mov_b32 v23, 0
	v_dual_mov_b32 v24, 0 :: v_dual_mov_b32 v25, 0
	;; [unrolled: 1-line block ×15, first 2 shown]
	v_sub_nc_u32_e32 v19, v19, v135
	v_add_co_u32 v12, vcc_lo, v12, v150
	s_wait_alu 0xfffd
	v_add_co_ci_u32_e64 v13, null, 0, v13, vcc_lo
	v_add_co_u32 v14, vcc_lo, v14, v150
	s_wait_alu 0xfffd
	v_add_co_ci_u32_e64 v15, null, 0, v15, vcc_lo
	v_cmp_gt_i32_e32 vcc_lo, 1, v19
	s_wait_alu 0xfffe
	s_or_b32 s49, vcc_lo, s49
	s_wait_loadcnt_dscnt 0x3e3e
	v_cvt_f32_bf8_e32 v119, v119
	v_cvt_f32_bf8_e32 v106, v106
	s_wait_loadcnt_dscnt 0x3d3d
	v_cvt_f32_bf8_e32 v43, v43
	s_wait_loadcnt_dscnt 0x3c3c
	;; [unrolled: 2-line block ×8, first 2 shown]
	v_cvt_f32_bf8_e32 v110, v110
	v_dual_mov_b32 v172, 0 :: v_dual_mul_f32 v119, v119, v106
	s_wait_loadcnt_dscnt 0x3535
	v_cvt_f32_bf8_e32 v47, v47
	s_wait_loadcnt_dscnt 0x3434
	v_cvt_f32_bf8_e32 v111, v111
	;; [unrolled: 2-line block ×54, first 2 shown]
	v_dual_mov_b32 v174, 0 :: v_dual_mul_f32 v43, v43, v107
	v_dual_mul_f32 v44, v44, v108 :: v_dual_mul_f32 v45, v45, v109
	v_dual_mul_f32 v46, v46, v110 :: v_dual_mul_f32 v47, v47, v111
	;; [unrolled: 1-line block ×15, first 2 shown]
	v_med3_num_f32 v106, v119, s89, 0xc7600000
	v_cmp_nlg_f32_e64 s62, 0x7f800000, |v119|
	v_med3_num_f32 v107, v43, s89, 0xc7600000
	v_cmp_nlg_f32_e64 s13, 0x7f800000, |v43|
	;; [unrolled: 2-line block ×32, first 2 shown]
	s_wait_alu 0xf1ff
	v_cndmask_b32_e64 v119, v106, v119, s62
	v_cndmask_b32_e64 v43, v107, v43, s13
	;; [unrolled: 1-line block ×32, first 2 shown]
	v_cvt_pk_bf8_f32 v22, v119, v119
	v_cvt_pk_bf8_f32 v23, v43, v43
	;; [unrolled: 1-line block ×32, first 2 shown]
	s_clause 0x1f
	flat_store_b8 v[8:9], v22 th:TH_STORE_NT
	flat_store_b8 v[8:9], v23 offset:32 th:TH_STORE_NT
	flat_store_b8 v[8:9], v24 offset:64 th:TH_STORE_NT
	;; [unrolled: 1-line block ×31, first 2 shown]
	s_clause 0x1f
	flat_store_b8 v[10:11], v22 th:TH_STORE_NT
	flat_store_b8 v[10:11], v23 offset:32 th:TH_STORE_NT
	flat_store_b8 v[10:11], v24 offset:64 th:TH_STORE_NT
	;; [unrolled: 1-line block ×31, first 2 shown]
	v_add_co_u32 v8, s13, v8, v150
	s_wait_alu 0xf1ff
	v_add_co_ci_u32_e64 v9, null, 0, v9, s13
	v_add_co_u32 v10, s13, v10, v150
	s_wait_alu 0xf1ff
	v_add_co_ci_u32_e64 v11, null, 0, v11, s13
	s_wait_alu 0xfffe
	s_and_not1_b32 exec_lo, exec_lo, s49
	s_cbranch_execnz .LBB6_592
; %bb.593:                              ;   in Loop: Header=BB6_495 Depth=2
	s_or_b32 exec_lo, exec_lo, s49
.LBB6_594:                              ;   in Loop: Header=BB6_495 Depth=2
	s_wait_alu 0xfffe
	s_or_b32 exec_lo, exec_lo, s48
	v_lshlrev_b32_e32 v8, 10, v21
	s_delay_alu instid0(VALU_DEP_1)
	v_cmp_ne_u32_e32 vcc_lo, v17, v8
	s_and_b32 exec_lo, exec_lo, vcc_lo
	s_cbranch_execz .LBB6_600
; %bb.595:                              ;   in Loop: Header=BB6_495 Depth=2
	v_add_nc_u32_e32 v9, v18, v20
	v_lshlrev_b32_e32 v10, 5, v19
	s_delay_alu instid0(VALU_DEP_2) | instskip(NEXT) | instid1(VALU_DEP_1)
	v_and_b32_e32 v9, 0xffffffe0, v9
	v_sub_nc_u32_e32 v9, v18, v9
	s_delay_alu instid0(VALU_DEP_1) | instskip(NEXT) | instid1(VALU_DEP_1)
	v_sub_nc_u32_e32 v9, v9, v10
	v_add_nc_u32_e32 v8, v8, v9
	s_delay_alu instid0(VALU_DEP_1) | instskip(NEXT) | instid1(VALU_DEP_1)
	v_sub_nc_u32_e32 v17, v17, v8
	v_cmp_lt_i32_e32 vcc_lo, 0, v17
	s_and_b32 exec_lo, exec_lo, vcc_lo
	s_cbranch_execz .LBB6_600
; %bb.596:                              ;   in Loop: Header=BB6_495 Depth=2
	s_trap 2
	ds_load_b128 v[9:12], v0
	v_add_nc_u32_e32 v13, v8, v16
	s_mov_b32 s15, 0
	s_delay_alu instid0(VALU_DEP_1) | instskip(SKIP_3) | instid1(VALU_DEP_2)
	v_ashrrev_i32_e32 v14, 31, v13
	s_wait_dscnt 0x0
	v_add_co_u32 v8, vcc_lo, v9, v13
	s_wait_alu 0xfffd
	v_add_co_ci_u32_e64 v9, null, v10, v14, vcc_lo
	v_add_co_u32 v10, vcc_lo, v11, v13
	s_wait_alu 0xfffd
	v_add_co_ci_u32_e64 v11, null, v12, v14, vcc_lo
	s_delay_alu instid0(VALU_DEP_3) | instskip(NEXT) | instid1(VALU_DEP_2)
	v_dual_mov_b32 v13, v9 :: v_dual_mov_b32 v12, v8
	v_dual_mov_b32 v15, v11 :: v_dual_mov_b32 v14, v10
.LBB6_597:                              ;   Parent Loop BB6_47 Depth=1
                                        ;     Parent Loop BB6_495 Depth=2
                                        ; =>    This Loop Header: Depth=3
                                        ;         Child Loop BB6_598 Depth 4
	flat_load_u8 v16, v[14:15] th:TH_LOAD_NT
	flat_load_u8 v18, v[12:13] th:TH_LOAD_NT
	s_mov_b64 s[16:17], 0
	s_mov_b32 s18, -1
	s_wait_loadcnt_dscnt 0x101
	v_cvt_f32_bf8_e32 v16, v16
	s_wait_loadcnt_dscnt 0x0
	v_cvt_f32_bf8_e32 v18, v18
	s_delay_alu instid0(VALU_DEP_1) | instskip(NEXT) | instid1(VALU_DEP_1)
	v_mul_f32_e32 v16, v16, v18
	v_med3_num_f32 v18, v16, s89, 0xc7600000
	v_cmp_nlg_f32_e64 vcc_lo, 0x7f800000, |v16|
	s_wait_alu 0xfffd
	s_delay_alu instid0(VALU_DEP_2) | instskip(SKIP_1) | instid1(VALU_DEP_1)
	v_cndmask_b32_e32 v18, v18, v16, vcc_lo
	v_mov_b32_e32 v16, 0
	v_cvt_pk_bf8_f32 v16, v18, v18
.LBB6_598:                              ;   Parent Loop BB6_47 Depth=1
                                        ;     Parent Loop BB6_495 Depth=2
                                        ;       Parent Loop BB6_597 Depth=3
                                        ; =>      This Inner Loop Header: Depth=4
	s_wait_alu 0xfffe
	s_cmp_eq_u32 s16, 1
	s_cselect_b32 vcc_lo, -1, 0
	s_cmp_eq_u32 s16, 0
	s_wait_alu 0xfffe
	v_dual_cndmask_b32 v19, v9, v11 :: v_dual_cndmask_b32 v18, v8, v10
	s_mov_b64 s[16:17], 1
	s_delay_alu instid0(VALU_DEP_1) | instskip(SKIP_1) | instid1(VALU_DEP_2)
	v_add_co_u32 v20, s13, v18, 32
	s_wait_alu 0xf1ff
	v_add_co_ci_u32_e64 v21, null, 0, v19, s13
	s_cselect_b32 s13, -1, 0
	s_and_b32 s14, exec_lo, s18
	v_dual_cndmask_b32 v10, v10, v20 :: v_dual_cndmask_b32 v11, v11, v21
	s_wait_alu 0xfffe
	v_cndmask_b32_e64 v9, v9, v21, s13
	v_cndmask_b32_e64 v8, v8, v20, s13
	s_mov_b32 s18, 0
	s_mov_b32 vcc_lo, s14
	flat_store_b8 v[18:19], v16 th:TH_STORE_NT
	s_wait_alu 0xfffe
	s_cbranch_vccnz .LBB6_598
; %bb.599:                              ;   in Loop: Header=BB6_597 Depth=3
	v_add_co_u32 v12, vcc_lo, v12, v166
	v_sub_nc_u32_e32 v17, v17, v144
	s_wait_alu 0xfffd
	v_add_co_ci_u32_e64 v13, null, v13, v167, vcc_lo
	v_add_co_u32 v14, vcc_lo, v14, v166
	s_wait_alu 0xfffd
	v_add_co_ci_u32_e64 v15, null, v15, v167, vcc_lo
	v_add_co_u32 v8, vcc_lo, v8, v160
	s_wait_alu 0xfffd
	v_add_co_ci_u32_e64 v9, null, v9, v162, vcc_lo
	v_cmp_gt_i32_e32 vcc_lo, 1, v17
	v_add_co_u32 v10, s13, v10, v160
	s_wait_alu 0xf1ff
	v_add_co_ci_u32_e64 v11, null, v11, v162, s13
	s_or_b32 s15, vcc_lo, s15
	s_wait_alu 0xfffe
	s_and_not1_b32 exec_lo, exec_lo, s15
	s_cbranch_execnz .LBB6_597
.LBB6_600:                              ;   in Loop: Header=BB6_495 Depth=2
	s_wait_alu 0xfffe
	s_or_b32 exec_lo, exec_lo, s39
	s_mov_b32 s13, 0
.LBB6_601:                              ;   in Loop: Header=BB6_495 Depth=2
	s_wait_alu 0xfffe
	s_and_b32 vcc_lo, exec_lo, s13
	s_wait_alu 0xfffe
	s_cbranch_vccz .LBB6_630
; %bb.602:                              ;   in Loop: Header=BB6_495 Depth=2
	s_mov_b32 s13, -1
	s_and_saveexec_b32 s14, s12
	s_cbranch_execz .LBB6_604
; %bb.603:                              ;   in Loop: Header=BB6_495 Depth=2
	ds_load_b32 v8, v0 offset:720
	s_wait_dscnt 0x0
	v_and_b32_e32 v8, 15, v8
	s_delay_alu instid0(VALU_DEP_1)
	v_cmp_eq_u32_e32 vcc_lo, 0, v8
	s_or_not1_b32 s13, vcc_lo, exec_lo
.LBB6_604:                              ;   in Loop: Header=BB6_495 Depth=2
	s_wait_alu 0xfffe
	s_or_b32 exec_lo, exec_lo, s14
	s_and_saveexec_b32 s14, s7
	s_cbranch_execz .LBB6_606
; %bb.605:                              ;   in Loop: Header=BB6_495 Depth=2
	ds_load_b32 v8, v0 offset:784
	s_wait_dscnt 0x0
	v_and_b32_e32 v8, 15, v8
	s_delay_alu instid0(VALU_DEP_1)
	v_cmp_eq_u32_e32 vcc_lo, 0, v8
	s_and_b32 s15, s13, vcc_lo
	s_and_not1_b32 s13, s13, exec_lo
	s_wait_alu 0xfffe
	s_and_b32 s15, s15, exec_lo
	s_wait_alu 0xfffe
	s_or_b32 s13, s13, s15
.LBB6_606:                              ;   in Loop: Header=BB6_495 Depth=2
	s_wait_alu 0xfffe
	s_or_b32 exec_lo, exec_lo, s14
	s_xor_b32 s13, s13, -1
	v_dual_mov_b32 v14, 0 :: v_dual_mov_b32 v15, v42
	s_wait_alu 0xfffe
	v_cndmask_b32_e64 v8, 0, 1, s13
	v_mov_b32_e32 v16, v0
	s_mov_b32 s13, -1
	s_delay_alu instid0(VALU_DEP_2)
	v_cmp_ne_u32_e32 vcc_lo, 0, v8
	v_mov_b32_e32 v8, v163
	s_cbranch_vccz .LBB6_608
; %bb.607:                              ;   in Loop: Header=BB6_495 Depth=2
	s_wait_alu 0xfffe
	s_and_saveexec_b32 s39, s13
	s_cbranch_execnz .LBB6_621
	s_branch .LBB6_629
.LBB6_608:                              ;   in Loop: Header=BB6_495 Depth=2
	v_ashrrev_i32_e32 v8, 31, v42
	s_mov_b32 s13, exec_lo
	s_delay_alu instid0(VALU_DEP_1) | instskip(NEXT) | instid1(VALU_DEP_1)
	v_lshrrev_b32_e32 v8, 21, v8
	v_add_nc_u32_e32 v8, v42, v8
	s_delay_alu instid0(VALU_DEP_1) | instskip(NEXT) | instid1(VALU_DEP_1)
	v_ashrrev_i32_e32 v129, 11, v8
	v_sub_nc_u32_e32 v128, v129, v163
	s_delay_alu instid0(VALU_DEP_1)
	v_cmpx_lt_i32_e32 0, v128
	s_cbranch_execz .LBB6_612
; %bb.609:                              ;   in Loop: Header=BB6_495 Depth=2
	s_trap 2
	ds_load_b64 v[8:9], v0
	v_add_co_u32 v114, vcc_lo, v101, v179
	s_wait_alu 0xfffd
	v_add_co_ci_u32_e64 v115, null, v102, v181, vcc_lo
	s_mov_b32 s14, 0
	s_wait_dscnt 0x0
	v_add_co_u32 v116, vcc_lo, v8, v179
	s_wait_alu 0xfffd
	v_add_co_ci_u32_e64 v117, null, v9, v181, vcc_lo
	v_add_co_u32 v118, vcc_lo, v112, v179
	s_wait_alu 0xfffd
	v_add_co_ci_u32_e64 v119, null, v113, v181, vcc_lo
.LBB6_610:                              ;   Parent Loop BB6_47 Depth=1
                                        ;     Parent Loop BB6_495 Depth=2
                                        ; =>    This Inner Loop Header: Depth=3
	s_clause 0x3
	global_load_b128 v[48:51], v[114:115], off th:TH_LOAD_NT
	global_load_b128 v[36:39], v[114:115], off offset:512 th:TH_LOAD_NT
	global_load_b128 v[16:19], v[114:115], off offset:1024 th:TH_LOAD_NT
	;; [unrolled: 1-line block ×3, first 2 shown]
	s_clause 0x3
	global_load_b128 v[8:11], v[116:117], off th:TH_LOAD_NT
	global_load_b128 v[12:15], v[116:117], off offset:512 th:TH_LOAD_NT
	global_load_b128 v[32:35], v[116:117], off offset:1024 th:TH_LOAD_NT
	;; [unrolled: 1-line block ×3, first 2 shown]
	v_sub_nc_u32_e32 v128, v128, v135
	s_wait_loadcnt 0x7
	v_and_b32_e32 v130, 0xff, v48
	s_wait_loadcnt 0x3
	v_bfe_u32 v43, v8, 8, 8
	s_delay_alu instid0(VALU_DEP_2) | instskip(SKIP_1) | instid1(VALU_DEP_3)
	v_cvt_f32_bf8_e32 v130, v130
	v_lshrrev_b32_e32 v44, 24, v8
	v_cvt_f32_bf8_e32 v43, v43
	v_and_b32_e32 v131, 0xff, v8
	v_bfe_u32 v8, v8, 16, 8
	s_delay_alu instid0(VALU_DEP_2) | instskip(NEXT) | instid1(VALU_DEP_2)
	v_cvt_f32_bf8_e32 v131, v131
	v_cvt_f32_bf8_e32 v8, v8
	s_delay_alu instid0(VALU_DEP_2) | instskip(NEXT) | instid1(VALU_DEP_1)
	v_mul_f32_e32 v130, v130, v131
	v_cmp_nlg_f32_e64 vcc_lo, 0x7f800000, |v130|
	v_med3_num_f32 v131, v130, s89, 0xc7600000
	s_wait_alu 0xfffd
	s_delay_alu instid0(VALU_DEP_1) | instskip(NEXT) | instid1(VALU_DEP_1)
	v_dual_cndmask_b32 v130, v131, v130 :: v_dual_mov_b32 v131, 0
	v_cvt_pk_bf8_f32 v131, v130, v130
	v_bfe_u32 v130, v48, 8, 8
	s_delay_alu instid0(VALU_DEP_1) | instskip(NEXT) | instid1(VALU_DEP_1)
	v_cvt_f32_bf8_e32 v130, v130
	v_mul_f32_e32 v130, v130, v43
	s_delay_alu instid0(VALU_DEP_1) | instskip(SKIP_2) | instid1(VALU_DEP_1)
	v_cmp_nlg_f32_e64 vcc_lo, 0x7f800000, |v130|
	v_med3_num_f32 v43, v130, s89, 0xc7600000
	s_wait_alu 0xfffd
	v_dual_cndmask_b32 v130, v43, v130 :: v_dual_mov_b32 v43, 0
	s_delay_alu instid0(VALU_DEP_1) | instskip(NEXT) | instid1(VALU_DEP_1)
	v_cvt_pk_bf8_f32 v43, v130, v130
	v_lshlrev_b32_e32 v130, 8, v43
	v_lshrrev_b32_e32 v43, 24, v48
	v_bfe_u32 v48, v48, 16, 8
	s_delay_alu instid0(VALU_DEP_3) | instskip(SKIP_1) | instid1(VALU_DEP_3)
	v_perm_b32 v130, v130, v131, 0xc0c0500
	v_bfe_u32 v131, v9, 8, 8
	v_cvt_f32_bf8_e32 v48, v48
	s_delay_alu instid0(VALU_DEP_2) | instskip(NEXT) | instid1(VALU_DEP_2)
	v_cvt_f32_bf8_e32 v131, v131
	v_mul_f32_e32 v8, v48, v8
	s_delay_alu instid0(VALU_DEP_1) | instskip(SKIP_2) | instid1(VALU_DEP_1)
	v_cmp_nlg_f32_e64 vcc_lo, 0x7f800000, |v8|
	v_med3_num_f32 v48, v8, s89, 0xc7600000
	s_wait_alu 0xfffd
	v_cndmask_b32_e32 v8, v48, v8, vcc_lo
	v_mov_b32_e32 v48, 0
	s_delay_alu instid0(VALU_DEP_1) | instskip(NEXT) | instid1(VALU_DEP_1)
	v_cvt_pk_bf8_f32 v48, v8, v8
	v_and_b32_e32 v8, 0xff, v48
	v_cvt_f32_bf8_e32 v48, v43
	v_cvt_f32_bf8_e32 v43, v44
	s_delay_alu instid0(VALU_DEP_3) | instskip(NEXT) | instid1(VALU_DEP_2)
	v_lshlrev_b32_e32 v8, 16, v8
	v_mul_f32_e32 v48, v48, v43
	s_delay_alu instid0(VALU_DEP_1) | instskip(SKIP_2) | instid1(VALU_DEP_1)
	v_cmp_nlg_f32_e64 vcc_lo, 0x7f800000, |v48|
	v_med3_num_f32 v43, v48, s89, 0xc7600000
	s_wait_alu 0xfffd
	v_dual_cndmask_b32 v48, v43, v48 :: v_dual_mov_b32 v43, 0
	s_delay_alu instid0(VALU_DEP_1) | instskip(NEXT) | instid1(VALU_DEP_1)
	v_cvt_pk_bf8_f32 v43, v48, v48
	v_lshlrev_b32_e32 v48, 24, v43
	v_lshrrev_b32_e32 v43, 24, v9
	s_delay_alu instid0(VALU_DEP_2) | instskip(SKIP_3) | instid1(VALU_DEP_3)
	v_or3_b32 v8, v48, v8, v130
	v_and_b32_e32 v48, 0xff, v49
	v_and_b32_e32 v130, 0xff, v9
	v_bfe_u32 v9, v9, 16, 8
	v_cvt_f32_bf8_e32 v48, v48
	s_delay_alu instid0(VALU_DEP_3) | instskip(NEXT) | instid1(VALU_DEP_3)
	v_cvt_f32_bf8_e32 v130, v130
	v_cvt_f32_bf8_e32 v9, v9
	s_delay_alu instid0(VALU_DEP_2) | instskip(NEXT) | instid1(VALU_DEP_1)
	v_mul_f32_e32 v48, v48, v130
	v_cmp_nlg_f32_e64 vcc_lo, 0x7f800000, |v48|
	v_med3_num_f32 v130, v48, s89, 0xc7600000
	s_wait_alu 0xfffd
	s_delay_alu instid0(VALU_DEP_1) | instskip(SKIP_1) | instid1(VALU_DEP_1)
	v_cndmask_b32_e32 v48, v130, v48, vcc_lo
	v_mov_b32_e32 v130, 0
	v_cvt_pk_bf8_f32 v130, v48, v48
	v_bfe_u32 v48, v49, 8, 8
	s_delay_alu instid0(VALU_DEP_1) | instskip(NEXT) | instid1(VALU_DEP_1)
	v_cvt_f32_bf8_e32 v48, v48
	v_mul_f32_e32 v48, v48, v131
	s_delay_alu instid0(VALU_DEP_1) | instskip(SKIP_2) | instid1(VALU_DEP_1)
	v_cmp_nlg_f32_e64 vcc_lo, 0x7f800000, |v48|
	v_med3_num_f32 v131, v48, s89, 0xc7600000
	s_wait_alu 0xfffd
	v_dual_cndmask_b32 v48, v131, v48 :: v_dual_mov_b32 v131, 0
	s_delay_alu instid0(VALU_DEP_1) | instskip(NEXT) | instid1(VALU_DEP_1)
	v_cvt_pk_bf8_f32 v131, v48, v48
	v_lshlrev_b32_e32 v48, 8, v131
	v_lshrrev_b32_e32 v131, 24, v49
	v_bfe_u32 v49, v49, 16, 8
	s_delay_alu instid0(VALU_DEP_3) | instskip(SKIP_1) | instid1(VALU_DEP_3)
	v_perm_b32 v48, v48, v130, 0xc0c0500
	v_bfe_u32 v130, v10, 8, 8
	v_cvt_f32_bf8_e32 v49, v49
	s_delay_alu instid0(VALU_DEP_2) | instskip(NEXT) | instid1(VALU_DEP_2)
	v_cvt_f32_bf8_e32 v130, v130
	v_mul_f32_e32 v9, v49, v9
	s_delay_alu instid0(VALU_DEP_1) | instskip(SKIP_2) | instid1(VALU_DEP_1)
	v_cmp_nlg_f32_e64 vcc_lo, 0x7f800000, |v9|
	v_med3_num_f32 v49, v9, s89, 0xc7600000
	s_wait_alu 0xfffd
	v_cndmask_b32_e32 v9, v49, v9, vcc_lo
	v_mov_b32_e32 v49, 0
	s_delay_alu instid0(VALU_DEP_1) | instskip(NEXT) | instid1(VALU_DEP_1)
	v_cvt_pk_bf8_f32 v49, v9, v9
	v_and_b32_e32 v9, 0xff, v49
	v_cvt_f32_bf8_e32 v49, v131
	v_cvt_f32_bf8_e32 v131, v43
	s_delay_alu instid0(VALU_DEP_3) | instskip(NEXT) | instid1(VALU_DEP_2)
	v_lshlrev_b32_e32 v9, 16, v9
	v_mul_f32_e32 v49, v49, v131
	s_delay_alu instid0(VALU_DEP_1) | instskip(SKIP_2) | instid1(VALU_DEP_1)
	v_cmp_nlg_f32_e64 vcc_lo, 0x7f800000, |v49|
	v_med3_num_f32 v131, v49, s89, 0xc7600000
	s_wait_alu 0xfffd
	v_cndmask_b32_e32 v49, v131, v49, vcc_lo
	v_mov_b32_e32 v131, 0
	s_delay_alu instid0(VALU_DEP_1) | instskip(NEXT) | instid1(VALU_DEP_1)
	v_cvt_pk_bf8_f32 v131, v49, v49
	v_lshlrev_b32_e32 v49, 24, v131
	v_lshrrev_b32_e32 v131, 24, v10
	s_delay_alu instid0(VALU_DEP_2) | instskip(SKIP_3) | instid1(VALU_DEP_3)
	v_or3_b32 v9, v49, v9, v48
	v_and_b32_e32 v48, 0xff, v50
	v_and_b32_e32 v49, 0xff, v10
	v_bfe_u32 v10, v10, 16, 8
	v_cvt_f32_bf8_e32 v48, v48
	s_delay_alu instid0(VALU_DEP_3) | instskip(NEXT) | instid1(VALU_DEP_3)
	v_cvt_f32_bf8_e32 v49, v49
	v_cvt_f32_bf8_e32 v10, v10
	s_delay_alu instid0(VALU_DEP_2) | instskip(NEXT) | instid1(VALU_DEP_1)
	v_mul_f32_e32 v48, v48, v49
	v_cmp_nlg_f32_e64 vcc_lo, 0x7f800000, |v48|
	v_med3_num_f32 v49, v48, s89, 0xc7600000
	s_wait_alu 0xfffd
	s_delay_alu instid0(VALU_DEP_1) | instskip(NEXT) | instid1(VALU_DEP_1)
	v_dual_cndmask_b32 v48, v49, v48 :: v_dual_mov_b32 v49, 0
	v_cvt_pk_bf8_f32 v49, v48, v48
	v_bfe_u32 v48, v50, 8, 8
	s_delay_alu instid0(VALU_DEP_1) | instskip(NEXT) | instid1(VALU_DEP_1)
	v_cvt_f32_bf8_e32 v48, v48
	v_mul_f32_e32 v48, v48, v130
	s_delay_alu instid0(VALU_DEP_1) | instskip(SKIP_2) | instid1(VALU_DEP_1)
	v_cmp_nlg_f32_e64 vcc_lo, 0x7f800000, |v48|
	v_med3_num_f32 v130, v48, s89, 0xc7600000
	s_wait_alu 0xfffd
	v_cndmask_b32_e32 v48, v130, v48, vcc_lo
	v_mov_b32_e32 v130, 0
	s_delay_alu instid0(VALU_DEP_1) | instskip(NEXT) | instid1(VALU_DEP_1)
	v_cvt_pk_bf8_f32 v130, v48, v48
	v_lshlrev_b32_e32 v48, 8, v130
	v_lshrrev_b32_e32 v130, 24, v50
	v_bfe_u32 v50, v50, 16, 8
	s_delay_alu instid0(VALU_DEP_3) | instskip(SKIP_1) | instid1(VALU_DEP_3)
	v_perm_b32 v48, v48, v49, 0xc0c0500
	v_and_b32_e32 v49, 0xff, v11
	v_cvt_f32_bf8_e32 v50, v50
	s_delay_alu instid0(VALU_DEP_2) | instskip(NEXT) | instid1(VALU_DEP_2)
	v_cvt_f32_bf8_e32 v49, v49
	v_mul_f32_e32 v10, v50, v10
	s_delay_alu instid0(VALU_DEP_1) | instskip(SKIP_2) | instid1(VALU_DEP_1)
	v_cmp_nlg_f32_e64 vcc_lo, 0x7f800000, |v10|
	v_med3_num_f32 v50, v10, s89, 0xc7600000
	s_wait_alu 0xfffd
	v_cndmask_b32_e32 v10, v50, v10, vcc_lo
	v_mov_b32_e32 v50, 0
	s_delay_alu instid0(VALU_DEP_1) | instskip(NEXT) | instid1(VALU_DEP_1)
	v_cvt_pk_bf8_f32 v50, v10, v10
	v_and_b32_e32 v10, 0xff, v50
	v_cvt_f32_bf8_e32 v50, v130
	v_cvt_f32_bf8_e32 v130, v131
	s_delay_alu instid0(VALU_DEP_3) | instskip(NEXT) | instid1(VALU_DEP_2)
	v_lshlrev_b32_e32 v10, 16, v10
	v_mul_f32_e32 v50, v50, v130
	s_delay_alu instid0(VALU_DEP_1) | instskip(SKIP_2) | instid1(VALU_DEP_1)
	v_cmp_nlg_f32_e64 vcc_lo, 0x7f800000, |v50|
	v_med3_num_f32 v130, v50, s89, 0xc7600000
	s_wait_alu 0xfffd
	v_cndmask_b32_e32 v50, v130, v50, vcc_lo
	v_mov_b32_e32 v130, 0
	s_delay_alu instid0(VALU_DEP_1) | instskip(NEXT) | instid1(VALU_DEP_1)
	v_cvt_pk_bf8_f32 v130, v50, v50
	v_lshlrev_b32_e32 v50, 24, v130
	v_lshrrev_b32_e32 v130, 24, v11
	s_delay_alu instid0(VALU_DEP_2) | instskip(SKIP_3) | instid1(VALU_DEP_3)
	v_or3_b32 v10, v50, v10, v48
	v_and_b32_e32 v48, 0xff, v51
	v_bfe_u32 v50, v11, 8, 8
	v_bfe_u32 v11, v11, 16, 8
	v_cvt_f32_bf8_e32 v48, v48
	s_delay_alu instid0(VALU_DEP_3) | instskip(NEXT) | instid1(VALU_DEP_3)
	v_cvt_f32_bf8_e32 v50, v50
	v_cvt_f32_bf8_e32 v11, v11
	s_delay_alu instid0(VALU_DEP_3) | instskip(NEXT) | instid1(VALU_DEP_1)
	v_mul_f32_e32 v48, v48, v49
	v_cmp_nlg_f32_e64 vcc_lo, 0x7f800000, |v48|
	v_med3_num_f32 v49, v48, s89, 0xc7600000
	s_wait_alu 0xfffd
	s_delay_alu instid0(VALU_DEP_1) | instskip(NEXT) | instid1(VALU_DEP_1)
	v_dual_cndmask_b32 v48, v49, v48 :: v_dual_mov_b32 v49, 0
	v_cvt_pk_bf8_f32 v49, v48, v48
	v_bfe_u32 v48, v51, 8, 8
	s_delay_alu instid0(VALU_DEP_1) | instskip(NEXT) | instid1(VALU_DEP_1)
	v_cvt_f32_bf8_e32 v48, v48
	v_mul_f32_e32 v48, v48, v50
	s_delay_alu instid0(VALU_DEP_1) | instskip(SKIP_2) | instid1(VALU_DEP_1)
	v_cmp_nlg_f32_e64 vcc_lo, 0x7f800000, |v48|
	v_med3_num_f32 v50, v48, s89, 0xc7600000
	s_wait_alu 0xfffd
	v_cndmask_b32_e32 v48, v50, v48, vcc_lo
	v_mov_b32_e32 v50, 0
	s_delay_alu instid0(VALU_DEP_1) | instskip(NEXT) | instid1(VALU_DEP_1)
	v_cvt_pk_bf8_f32 v50, v48, v48
	v_lshlrev_b32_e32 v48, 8, v50
	v_lshrrev_b32_e32 v50, 24, v51
	v_bfe_u32 v51, v51, 16, 8
	s_delay_alu instid0(VALU_DEP_3) | instskip(NEXT) | instid1(VALU_DEP_3)
	v_perm_b32 v48, v48, v49, 0xc0c0500
	v_cvt_f32_bf8_e32 v50, v50
	s_delay_alu instid0(VALU_DEP_3) | instskip(SKIP_2) | instid1(VALU_DEP_2)
	v_cvt_f32_bf8_e32 v51, v51
	s_wait_loadcnt 0x2
	v_and_b32_e32 v49, 0xff, v12
	v_mul_f32_e32 v11, v51, v11
	s_delay_alu instid0(VALU_DEP_2) | instskip(NEXT) | instid1(VALU_DEP_2)
	v_cvt_f32_bf8_e32 v49, v49
	v_cmp_nlg_f32_e64 vcc_lo, 0x7f800000, |v11|
	v_med3_num_f32 v51, v11, s89, 0xc7600000
	s_wait_alu 0xfffd
	s_delay_alu instid0(VALU_DEP_1) | instskip(SKIP_1) | instid1(VALU_DEP_1)
	v_cndmask_b32_e32 v11, v51, v11, vcc_lo
	v_mov_b32_e32 v51, 0
	v_cvt_pk_bf8_f32 v51, v11, v11
	s_delay_alu instid0(VALU_DEP_1) | instskip(SKIP_1) | instid1(VALU_DEP_2)
	v_and_b32_e32 v11, 0xff, v51
	v_cvt_f32_bf8_e32 v51, v130
	v_lshlrev_b32_e32 v11, 16, v11
	s_delay_alu instid0(VALU_DEP_2) | instskip(NEXT) | instid1(VALU_DEP_1)
	v_mul_f32_e32 v50, v50, v51
	v_cmp_nlg_f32_e64 vcc_lo, 0x7f800000, |v50|
	v_med3_num_f32 v51, v50, s89, 0xc7600000
	s_wait_alu 0xfffd
	s_delay_alu instid0(VALU_DEP_1) | instskip(NEXT) | instid1(VALU_DEP_1)
	v_dual_cndmask_b32 v50, v51, v50 :: v_dual_mov_b32 v51, 0
	v_cvt_pk_bf8_f32 v51, v50, v50
	s_delay_alu instid0(VALU_DEP_1) | instskip(SKIP_1) | instid1(VALU_DEP_2)
	v_lshlrev_b32_e32 v50, 24, v51
	v_lshrrev_b32_e32 v51, 24, v12
	v_or3_b32 v11, v50, v11, v48
	v_and_b32_e32 v48, 0xff, v36
	v_bfe_u32 v50, v12, 8, 8
	v_bfe_u32 v12, v12, 16, 8
	s_delay_alu instid0(VALU_DEP_3) | instskip(NEXT) | instid1(VALU_DEP_3)
	v_cvt_f32_bf8_e32 v48, v48
	v_cvt_f32_bf8_e32 v50, v50
	s_delay_alu instid0(VALU_DEP_3) | instskip(NEXT) | instid1(VALU_DEP_3)
	v_cvt_f32_bf8_e32 v12, v12
	v_mul_f32_e32 v48, v48, v49
	s_delay_alu instid0(VALU_DEP_1) | instskip(SKIP_2) | instid1(VALU_DEP_1)
	v_cmp_nlg_f32_e64 vcc_lo, 0x7f800000, |v48|
	v_med3_num_f32 v49, v48, s89, 0xc7600000
	s_wait_alu 0xfffd
	v_dual_cndmask_b32 v48, v49, v48 :: v_dual_mov_b32 v49, 0
	s_delay_alu instid0(VALU_DEP_1) | instskip(SKIP_1) | instid1(VALU_DEP_1)
	v_cvt_pk_bf8_f32 v49, v48, v48
	v_bfe_u32 v48, v36, 8, 8
	v_cvt_f32_bf8_e32 v48, v48
	s_delay_alu instid0(VALU_DEP_1) | instskip(NEXT) | instid1(VALU_DEP_1)
	v_mul_f32_e32 v48, v48, v50
	v_cmp_nlg_f32_e64 vcc_lo, 0x7f800000, |v48|
	v_med3_num_f32 v50, v48, s89, 0xc7600000
	s_wait_alu 0xfffd
	s_delay_alu instid0(VALU_DEP_1) | instskip(SKIP_1) | instid1(VALU_DEP_1)
	v_cndmask_b32_e32 v48, v50, v48, vcc_lo
	v_mov_b32_e32 v50, 0
	v_cvt_pk_bf8_f32 v50, v48, v48
	s_delay_alu instid0(VALU_DEP_1) | instskip(SKIP_2) | instid1(VALU_DEP_3)
	v_lshlrev_b32_e32 v48, 8, v50
	v_lshrrev_b32_e32 v50, 24, v36
	v_bfe_u32 v36, v36, 16, 8
	v_perm_b32 v48, v48, v49, 0xc0c0500
	v_bfe_u32 v49, v13, 8, 8
	s_delay_alu instid0(VALU_DEP_3) | instskip(NEXT) | instid1(VALU_DEP_2)
	v_cvt_f32_bf8_e32 v36, v36
	v_cvt_f32_bf8_e32 v49, v49
	s_delay_alu instid0(VALU_DEP_2) | instskip(NEXT) | instid1(VALU_DEP_1)
	v_mul_f32_e32 v12, v36, v12
	v_cmp_nlg_f32_e64 vcc_lo, 0x7f800000, |v12|
	v_med3_num_f32 v36, v12, s89, 0xc7600000
	s_wait_alu 0xfffd
	s_delay_alu instid0(VALU_DEP_1) | instskip(SKIP_1) | instid1(VALU_DEP_1)
	v_cndmask_b32_e32 v12, v36, v12, vcc_lo
	v_mov_b32_e32 v36, 0
	v_cvt_pk_bf8_f32 v36, v12, v12
	s_delay_alu instid0(VALU_DEP_1) | instskip(SKIP_2) | instid1(VALU_DEP_3)
	v_and_b32_e32 v12, 0xff, v36
	v_cvt_f32_bf8_e32 v36, v50
	v_cvt_f32_bf8_e32 v50, v51
	v_lshlrev_b32_e32 v12, 16, v12
	s_delay_alu instid0(VALU_DEP_2) | instskip(NEXT) | instid1(VALU_DEP_1)
	v_mul_f32_e32 v36, v36, v50
	v_cmp_nlg_f32_e64 vcc_lo, 0x7f800000, |v36|
	v_med3_num_f32 v50, v36, s89, 0xc7600000
	s_wait_alu 0xfffd
	s_delay_alu instid0(VALU_DEP_1) | instskip(SKIP_1) | instid1(VALU_DEP_1)
	v_cndmask_b32_e32 v36, v50, v36, vcc_lo
	v_mov_b32_e32 v50, 0
	v_cvt_pk_bf8_f32 v50, v36, v36
	s_delay_alu instid0(VALU_DEP_1) | instskip(SKIP_1) | instid1(VALU_DEP_2)
	v_lshlrev_b32_e32 v36, 24, v50
	v_lshrrev_b32_e32 v50, 24, v13
	v_or3_b32 v12, v36, v12, v48
	v_and_b32_e32 v36, 0xff, v37
	v_and_b32_e32 v48, 0xff, v13
	v_bfe_u32 v13, v13, 16, 8
	s_delay_alu instid0(VALU_DEP_3) | instskip(NEXT) | instid1(VALU_DEP_3)
	v_cvt_f32_bf8_e32 v36, v36
	v_cvt_f32_bf8_e32 v48, v48
	s_delay_alu instid0(VALU_DEP_3) | instskip(NEXT) | instid1(VALU_DEP_2)
	v_cvt_f32_bf8_e32 v13, v13
	v_mul_f32_e32 v36, v36, v48
	s_delay_alu instid0(VALU_DEP_1) | instskip(SKIP_2) | instid1(VALU_DEP_1)
	v_cmp_nlg_f32_e64 vcc_lo, 0x7f800000, |v36|
	v_med3_num_f32 v48, v36, s89, 0xc7600000
	s_wait_alu 0xfffd
	v_cndmask_b32_e32 v36, v48, v36, vcc_lo
	v_mov_b32_e32 v48, 0
	s_delay_alu instid0(VALU_DEP_1) | instskip(SKIP_1) | instid1(VALU_DEP_1)
	v_cvt_pk_bf8_f32 v48, v36, v36
	v_bfe_u32 v36, v37, 8, 8
	v_cvt_f32_bf8_e32 v36, v36
	s_delay_alu instid0(VALU_DEP_1) | instskip(NEXT) | instid1(VALU_DEP_1)
	v_mul_f32_e32 v36, v36, v49
	v_cmp_nlg_f32_e64 vcc_lo, 0x7f800000, |v36|
	v_med3_num_f32 v49, v36, s89, 0xc7600000
	s_wait_alu 0xfffd
	s_delay_alu instid0(VALU_DEP_1) | instskip(NEXT) | instid1(VALU_DEP_1)
	v_dual_cndmask_b32 v36, v49, v36 :: v_dual_mov_b32 v49, 0
	v_cvt_pk_bf8_f32 v49, v36, v36
	s_delay_alu instid0(VALU_DEP_1) | instskip(SKIP_2) | instid1(VALU_DEP_3)
	v_lshlrev_b32_e32 v36, 8, v49
	v_lshrrev_b32_e32 v49, 24, v37
	v_bfe_u32 v37, v37, 16, 8
	v_perm_b32 v36, v36, v48, 0xc0c0500
	v_bfe_u32 v48, v14, 8, 8
	s_delay_alu instid0(VALU_DEP_3) | instskip(NEXT) | instid1(VALU_DEP_2)
	v_cvt_f32_bf8_e32 v37, v37
	v_cvt_f32_bf8_e32 v48, v48
	s_delay_alu instid0(VALU_DEP_2) | instskip(NEXT) | instid1(VALU_DEP_1)
	v_mul_f32_e32 v13, v37, v13
	v_cmp_nlg_f32_e64 vcc_lo, 0x7f800000, |v13|
	v_med3_num_f32 v37, v13, s89, 0xc7600000
	s_wait_alu 0xfffd
	s_delay_alu instid0(VALU_DEP_1) | instskip(SKIP_1) | instid1(VALU_DEP_1)
	v_cndmask_b32_e32 v13, v37, v13, vcc_lo
	v_mov_b32_e32 v37, 0
	v_cvt_pk_bf8_f32 v37, v13, v13
	s_delay_alu instid0(VALU_DEP_1) | instskip(SKIP_2) | instid1(VALU_DEP_3)
	v_and_b32_e32 v13, 0xff, v37
	v_cvt_f32_bf8_e32 v37, v49
	v_cvt_f32_bf8_e32 v49, v50
	v_lshlrev_b32_e32 v13, 16, v13
	s_delay_alu instid0(VALU_DEP_2) | instskip(NEXT) | instid1(VALU_DEP_1)
	v_mul_f32_e32 v37, v37, v49
	v_cmp_nlg_f32_e64 vcc_lo, 0x7f800000, |v37|
	v_med3_num_f32 v49, v37, s89, 0xc7600000
	s_wait_alu 0xfffd
	s_delay_alu instid0(VALU_DEP_1) | instskip(SKIP_1) | instid1(VALU_DEP_1)
	v_cndmask_b32_e32 v37, v49, v37, vcc_lo
	v_mov_b32_e32 v49, 0
	v_cvt_pk_bf8_f32 v49, v37, v37
	s_delay_alu instid0(VALU_DEP_1) | instskip(SKIP_1) | instid1(VALU_DEP_2)
	v_lshlrev_b32_e32 v37, 24, v49
	v_lshrrev_b32_e32 v49, 24, v14
	v_or3_b32 v13, v37, v13, v36
	v_and_b32_e32 v36, 0xff, v38
	v_and_b32_e32 v37, 0xff, v14
	v_bfe_u32 v14, v14, 16, 8
	s_delay_alu instid0(VALU_DEP_3) | instskip(NEXT) | instid1(VALU_DEP_3)
	v_cvt_f32_bf8_e32 v36, v36
	v_cvt_f32_bf8_e32 v37, v37
	s_delay_alu instid0(VALU_DEP_3) | instskip(NEXT) | instid1(VALU_DEP_2)
	v_cvt_f32_bf8_e32 v14, v14
	v_mul_f32_e32 v36, v36, v37
	s_delay_alu instid0(VALU_DEP_1) | instskip(SKIP_2) | instid1(VALU_DEP_1)
	v_cmp_nlg_f32_e64 vcc_lo, 0x7f800000, |v36|
	v_med3_num_f32 v37, v36, s89, 0xc7600000
	s_wait_alu 0xfffd
	v_dual_cndmask_b32 v36, v37, v36 :: v_dual_mov_b32 v37, 0
	s_delay_alu instid0(VALU_DEP_1) | instskip(SKIP_1) | instid1(VALU_DEP_1)
	v_cvt_pk_bf8_f32 v37, v36, v36
	v_bfe_u32 v36, v38, 8, 8
	v_cvt_f32_bf8_e32 v36, v36
	s_delay_alu instid0(VALU_DEP_1) | instskip(NEXT) | instid1(VALU_DEP_1)
	v_mul_f32_e32 v36, v36, v48
	v_cmp_nlg_f32_e64 vcc_lo, 0x7f800000, |v36|
	v_med3_num_f32 v48, v36, s89, 0xc7600000
	s_wait_alu 0xfffd
	s_delay_alu instid0(VALU_DEP_1) | instskip(SKIP_1) | instid1(VALU_DEP_1)
	v_cndmask_b32_e32 v36, v48, v36, vcc_lo
	v_mov_b32_e32 v48, 0
	v_cvt_pk_bf8_f32 v48, v36, v36
	s_delay_alu instid0(VALU_DEP_1) | instskip(SKIP_2) | instid1(VALU_DEP_3)
	v_lshlrev_b32_e32 v36, 8, v48
	v_lshrrev_b32_e32 v48, 24, v38
	v_bfe_u32 v38, v38, 16, 8
	v_perm_b32 v36, v36, v37, 0xc0c0500
	v_and_b32_e32 v37, 0xff, v15
	s_delay_alu instid0(VALU_DEP_3) | instskip(NEXT) | instid1(VALU_DEP_2)
	v_cvt_f32_bf8_e32 v38, v38
	v_cvt_f32_bf8_e32 v37, v37
	s_delay_alu instid0(VALU_DEP_2) | instskip(NEXT) | instid1(VALU_DEP_1)
	v_mul_f32_e32 v14, v38, v14
	v_cmp_nlg_f32_e64 vcc_lo, 0x7f800000, |v14|
	v_med3_num_f32 v38, v14, s89, 0xc7600000
	s_wait_alu 0xfffd
	s_delay_alu instid0(VALU_DEP_1) | instskip(SKIP_1) | instid1(VALU_DEP_1)
	v_cndmask_b32_e32 v14, v38, v14, vcc_lo
	v_mov_b32_e32 v38, 0
	v_cvt_pk_bf8_f32 v38, v14, v14
	s_delay_alu instid0(VALU_DEP_1) | instskip(SKIP_2) | instid1(VALU_DEP_3)
	v_and_b32_e32 v14, 0xff, v38
	v_cvt_f32_bf8_e32 v38, v48
	v_cvt_f32_bf8_e32 v48, v49
	v_lshlrev_b32_e32 v14, 16, v14
	s_delay_alu instid0(VALU_DEP_2) | instskip(NEXT) | instid1(VALU_DEP_1)
	v_mul_f32_e32 v38, v38, v48
	v_cmp_nlg_f32_e64 vcc_lo, 0x7f800000, |v38|
	v_med3_num_f32 v48, v38, s89, 0xc7600000
	s_wait_alu 0xfffd
	s_delay_alu instid0(VALU_DEP_1) | instskip(SKIP_1) | instid1(VALU_DEP_1)
	v_cndmask_b32_e32 v38, v48, v38, vcc_lo
	v_mov_b32_e32 v48, 0
	v_cvt_pk_bf8_f32 v48, v38, v38
	s_delay_alu instid0(VALU_DEP_1) | instskip(SKIP_1) | instid1(VALU_DEP_2)
	v_lshlrev_b32_e32 v38, 24, v48
	v_lshrrev_b32_e32 v48, 24, v15
	v_or3_b32 v14, v38, v14, v36
	v_and_b32_e32 v36, 0xff, v39
	v_bfe_u32 v38, v15, 8, 8
	v_bfe_u32 v15, v15, 16, 8
	s_delay_alu instid0(VALU_DEP_3) | instskip(NEXT) | instid1(VALU_DEP_3)
	v_cvt_f32_bf8_e32 v36, v36
	v_cvt_f32_bf8_e32 v38, v38
	s_delay_alu instid0(VALU_DEP_3) | instskip(NEXT) | instid1(VALU_DEP_3)
	v_cvt_f32_bf8_e32 v15, v15
	v_mul_f32_e32 v36, v36, v37
	s_delay_alu instid0(VALU_DEP_1) | instskip(SKIP_2) | instid1(VALU_DEP_1)
	v_cmp_nlg_f32_e64 vcc_lo, 0x7f800000, |v36|
	v_med3_num_f32 v37, v36, s89, 0xc7600000
	s_wait_alu 0xfffd
	v_dual_cndmask_b32 v36, v37, v36 :: v_dual_mov_b32 v37, 0
	s_delay_alu instid0(VALU_DEP_1) | instskip(SKIP_1) | instid1(VALU_DEP_1)
	v_cvt_pk_bf8_f32 v37, v36, v36
	v_bfe_u32 v36, v39, 8, 8
	v_cvt_f32_bf8_e32 v36, v36
	s_delay_alu instid0(VALU_DEP_1) | instskip(NEXT) | instid1(VALU_DEP_1)
	v_mul_f32_e32 v36, v36, v38
	v_cmp_nlg_f32_e64 vcc_lo, 0x7f800000, |v36|
	v_med3_num_f32 v38, v36, s89, 0xc7600000
	s_wait_alu 0xfffd
	s_delay_alu instid0(VALU_DEP_1) | instskip(SKIP_1) | instid1(VALU_DEP_1)
	v_cndmask_b32_e32 v36, v38, v36, vcc_lo
	v_mov_b32_e32 v38, 0
	v_cvt_pk_bf8_f32 v38, v36, v36
	s_delay_alu instid0(VALU_DEP_1) | instskip(SKIP_2) | instid1(VALU_DEP_3)
	v_lshlrev_b32_e32 v36, 8, v38
	v_lshrrev_b32_e32 v38, 24, v39
	v_bfe_u32 v39, v39, 16, 8
	v_perm_b32 v36, v36, v37, 0xc0c0500
	s_delay_alu instid0(VALU_DEP_3) | instskip(NEXT) | instid1(VALU_DEP_3)
	v_cvt_f32_bf8_e32 v38, v38
	v_cvt_f32_bf8_e32 v39, v39
	s_wait_loadcnt 0x1
	v_and_b32_e32 v37, 0xff, v32
	s_delay_alu instid0(VALU_DEP_2) | instskip(NEXT) | instid1(VALU_DEP_2)
	v_mul_f32_e32 v15, v39, v15
	v_cvt_f32_bf8_e32 v37, v37
	s_delay_alu instid0(VALU_DEP_2) | instskip(SKIP_2) | instid1(VALU_DEP_1)
	v_cmp_nlg_f32_e64 vcc_lo, 0x7f800000, |v15|
	v_med3_num_f32 v39, v15, s89, 0xc7600000
	s_wait_alu 0xfffd
	v_cndmask_b32_e32 v15, v39, v15, vcc_lo
	v_mov_b32_e32 v39, 0
	s_delay_alu instid0(VALU_DEP_1) | instskip(NEXT) | instid1(VALU_DEP_1)
	v_cvt_pk_bf8_f32 v39, v15, v15
	v_and_b32_e32 v15, 0xff, v39
	v_cvt_f32_bf8_e32 v39, v48
	s_delay_alu instid0(VALU_DEP_2) | instskip(NEXT) | instid1(VALU_DEP_2)
	v_lshlrev_b32_e32 v15, 16, v15
	v_mul_f32_e32 v38, v38, v39
	s_delay_alu instid0(VALU_DEP_1) | instskip(SKIP_2) | instid1(VALU_DEP_1)
	v_cmp_nlg_f32_e64 vcc_lo, 0x7f800000, |v38|
	v_med3_num_f32 v39, v38, s89, 0xc7600000
	s_wait_alu 0xfffd
	v_dual_cndmask_b32 v38, v39, v38 :: v_dual_mov_b32 v39, 0
	s_delay_alu instid0(VALU_DEP_1) | instskip(NEXT) | instid1(VALU_DEP_1)
	v_cvt_pk_bf8_f32 v39, v38, v38
	v_lshlrev_b32_e32 v38, 24, v39
	v_lshrrev_b32_e32 v39, 24, v32
	s_delay_alu instid0(VALU_DEP_2) | instskip(SKIP_3) | instid1(VALU_DEP_3)
	v_or3_b32 v15, v38, v15, v36
	v_and_b32_e32 v36, 0xff, v16
	v_bfe_u32 v38, v32, 8, 8
	v_bfe_u32 v32, v32, 16, 8
	v_cvt_f32_bf8_e32 v36, v36
	s_delay_alu instid0(VALU_DEP_3) | instskip(NEXT) | instid1(VALU_DEP_3)
	v_cvt_f32_bf8_e32 v38, v38
	v_cvt_f32_bf8_e32 v32, v32
	s_delay_alu instid0(VALU_DEP_3) | instskip(NEXT) | instid1(VALU_DEP_1)
	v_mul_f32_e32 v36, v36, v37
	v_cmp_nlg_f32_e64 vcc_lo, 0x7f800000, |v36|
	v_med3_num_f32 v37, v36, s89, 0xc7600000
	s_wait_alu 0xfffd
	s_delay_alu instid0(VALU_DEP_1) | instskip(NEXT) | instid1(VALU_DEP_1)
	v_dual_cndmask_b32 v36, v37, v36 :: v_dual_mov_b32 v37, 0
	v_cvt_pk_bf8_f32 v37, v36, v36
	v_bfe_u32 v36, v16, 8, 8
	s_delay_alu instid0(VALU_DEP_1) | instskip(NEXT) | instid1(VALU_DEP_1)
	v_cvt_f32_bf8_e32 v36, v36
	v_mul_f32_e32 v36, v36, v38
	s_delay_alu instid0(VALU_DEP_1) | instskip(SKIP_2) | instid1(VALU_DEP_1)
	v_cmp_nlg_f32_e64 vcc_lo, 0x7f800000, |v36|
	v_med3_num_f32 v38, v36, s89, 0xc7600000
	s_wait_alu 0xfffd
	v_cndmask_b32_e32 v36, v38, v36, vcc_lo
	v_mov_b32_e32 v38, 0
	s_delay_alu instid0(VALU_DEP_1) | instskip(NEXT) | instid1(VALU_DEP_1)
	v_cvt_pk_bf8_f32 v38, v36, v36
	v_lshlrev_b32_e32 v36, 8, v38
	v_lshrrev_b32_e32 v38, 24, v16
	v_bfe_u32 v16, v16, 16, 8
	s_delay_alu instid0(VALU_DEP_3) | instskip(SKIP_1) | instid1(VALU_DEP_3)
	v_perm_b32 v36, v36, v37, 0xc0c0500
	v_bfe_u32 v37, v33, 8, 8
	v_cvt_f32_bf8_e32 v16, v16
	s_delay_alu instid0(VALU_DEP_2) | instskip(NEXT) | instid1(VALU_DEP_2)
	v_cvt_f32_bf8_e32 v37, v37
	v_mul_f32_e32 v16, v16, v32
	s_delay_alu instid0(VALU_DEP_1) | instskip(SKIP_2) | instid1(VALU_DEP_1)
	v_cmp_nlg_f32_e64 vcc_lo, 0x7f800000, |v16|
	v_med3_num_f32 v32, v16, s89, 0xc7600000
	s_wait_alu 0xfffd
	v_cndmask_b32_e32 v16, v32, v16, vcc_lo
	v_mov_b32_e32 v32, 0
	s_delay_alu instid0(VALU_DEP_1) | instskip(NEXT) | instid1(VALU_DEP_1)
	v_cvt_pk_bf8_f32 v32, v16, v16
	v_and_b32_e32 v16, 0xff, v32
	v_cvt_f32_bf8_e32 v32, v38
	v_cvt_f32_bf8_e32 v38, v39
	s_delay_alu instid0(VALU_DEP_3) | instskip(NEXT) | instid1(VALU_DEP_2)
	v_lshlrev_b32_e32 v16, 16, v16
	v_mul_f32_e32 v32, v32, v38
	s_delay_alu instid0(VALU_DEP_1) | instskip(SKIP_2) | instid1(VALU_DEP_1)
	v_cmp_nlg_f32_e64 vcc_lo, 0x7f800000, |v32|
	v_med3_num_f32 v38, v32, s89, 0xc7600000
	s_wait_alu 0xfffd
	v_cndmask_b32_e32 v32, v38, v32, vcc_lo
	v_mov_b32_e32 v38, 0
	s_delay_alu instid0(VALU_DEP_1) | instskip(NEXT) | instid1(VALU_DEP_1)
	v_cvt_pk_bf8_f32 v38, v32, v32
	v_lshlrev_b32_e32 v32, 24, v38
	v_lshrrev_b32_e32 v38, 24, v33
	s_delay_alu instid0(VALU_DEP_2) | instskip(SKIP_3) | instid1(VALU_DEP_3)
	v_or3_b32 v16, v32, v16, v36
	v_and_b32_e32 v32, 0xff, v17
	v_and_b32_e32 v36, 0xff, v33
	v_bfe_u32 v33, v33, 16, 8
	v_cvt_f32_bf8_e32 v32, v32
	s_delay_alu instid0(VALU_DEP_3) | instskip(NEXT) | instid1(VALU_DEP_3)
	v_cvt_f32_bf8_e32 v36, v36
	v_cvt_f32_bf8_e32 v33, v33
	s_delay_alu instid0(VALU_DEP_2) | instskip(NEXT) | instid1(VALU_DEP_1)
	v_mul_f32_e32 v32, v32, v36
	v_cmp_nlg_f32_e64 vcc_lo, 0x7f800000, |v32|
	v_med3_num_f32 v36, v32, s89, 0xc7600000
	s_wait_alu 0xfffd
	s_delay_alu instid0(VALU_DEP_1) | instskip(SKIP_1) | instid1(VALU_DEP_1)
	v_cndmask_b32_e32 v32, v36, v32, vcc_lo
	v_mov_b32_e32 v36, 0
	v_cvt_pk_bf8_f32 v36, v32, v32
	v_bfe_u32 v32, v17, 8, 8
	s_delay_alu instid0(VALU_DEP_1) | instskip(NEXT) | instid1(VALU_DEP_1)
	v_cvt_f32_bf8_e32 v32, v32
	v_mul_f32_e32 v32, v32, v37
	s_delay_alu instid0(VALU_DEP_1) | instskip(SKIP_2) | instid1(VALU_DEP_1)
	v_cmp_nlg_f32_e64 vcc_lo, 0x7f800000, |v32|
	v_med3_num_f32 v37, v32, s89, 0xc7600000
	s_wait_alu 0xfffd
	v_dual_cndmask_b32 v32, v37, v32 :: v_dual_mov_b32 v37, 0
	s_delay_alu instid0(VALU_DEP_1) | instskip(NEXT) | instid1(VALU_DEP_1)
	v_cvt_pk_bf8_f32 v37, v32, v32
	v_lshlrev_b32_e32 v32, 8, v37
	v_lshrrev_b32_e32 v37, 24, v17
	v_bfe_u32 v17, v17, 16, 8
	s_delay_alu instid0(VALU_DEP_3) | instskip(SKIP_1) | instid1(VALU_DEP_3)
	v_perm_b32 v32, v32, v36, 0xc0c0500
	v_bfe_u32 v36, v34, 8, 8
	v_cvt_f32_bf8_e32 v17, v17
	s_delay_alu instid0(VALU_DEP_2) | instskip(NEXT) | instid1(VALU_DEP_2)
	v_cvt_f32_bf8_e32 v36, v36
	v_mul_f32_e32 v17, v17, v33
	s_delay_alu instid0(VALU_DEP_1) | instskip(SKIP_2) | instid1(VALU_DEP_1)
	v_cmp_nlg_f32_e64 vcc_lo, 0x7f800000, |v17|
	v_med3_num_f32 v33, v17, s89, 0xc7600000
	s_wait_alu 0xfffd
	v_cndmask_b32_e32 v17, v33, v17, vcc_lo
	v_mov_b32_e32 v33, 0
	s_delay_alu instid0(VALU_DEP_1) | instskip(NEXT) | instid1(VALU_DEP_1)
	v_cvt_pk_bf8_f32 v33, v17, v17
	v_and_b32_e32 v17, 0xff, v33
	v_cvt_f32_bf8_e32 v33, v37
	v_cvt_f32_bf8_e32 v37, v38
	s_delay_alu instid0(VALU_DEP_3) | instskip(NEXT) | instid1(VALU_DEP_2)
	v_lshlrev_b32_e32 v17, 16, v17
	v_mul_f32_e32 v33, v33, v37
	s_delay_alu instid0(VALU_DEP_1) | instskip(SKIP_2) | instid1(VALU_DEP_1)
	v_cmp_nlg_f32_e64 vcc_lo, 0x7f800000, |v33|
	v_med3_num_f32 v37, v33, s89, 0xc7600000
	s_wait_alu 0xfffd
	v_cndmask_b32_e32 v33, v37, v33, vcc_lo
	v_mov_b32_e32 v37, 0
	s_delay_alu instid0(VALU_DEP_1) | instskip(NEXT) | instid1(VALU_DEP_1)
	v_cvt_pk_bf8_f32 v37, v33, v33
	v_lshlrev_b32_e32 v33, 24, v37
	v_lshrrev_b32_e32 v37, 24, v34
	s_delay_alu instid0(VALU_DEP_2) | instskip(SKIP_3) | instid1(VALU_DEP_3)
	v_or3_b32 v17, v33, v17, v32
	v_and_b32_e32 v32, 0xff, v18
	v_and_b32_e32 v33, 0xff, v34
	v_bfe_u32 v34, v34, 16, 8
	v_cvt_f32_bf8_e32 v32, v32
	s_delay_alu instid0(VALU_DEP_3) | instskip(NEXT) | instid1(VALU_DEP_3)
	v_cvt_f32_bf8_e32 v33, v33
	v_cvt_f32_bf8_e32 v34, v34
	s_delay_alu instid0(VALU_DEP_2) | instskip(NEXT) | instid1(VALU_DEP_1)
	v_mul_f32_e32 v32, v32, v33
	v_cmp_nlg_f32_e64 vcc_lo, 0x7f800000, |v32|
	v_med3_num_f32 v33, v32, s89, 0xc7600000
	s_wait_alu 0xfffd
	s_delay_alu instid0(VALU_DEP_1) | instskip(NEXT) | instid1(VALU_DEP_1)
	v_dual_cndmask_b32 v32, v33, v32 :: v_dual_mov_b32 v33, 0
	v_cvt_pk_bf8_f32 v33, v32, v32
	v_bfe_u32 v32, v18, 8, 8
	s_delay_alu instid0(VALU_DEP_1) | instskip(NEXT) | instid1(VALU_DEP_1)
	v_cvt_f32_bf8_e32 v32, v32
	v_mul_f32_e32 v32, v32, v36
	s_delay_alu instid0(VALU_DEP_1) | instskip(SKIP_2) | instid1(VALU_DEP_1)
	v_cmp_nlg_f32_e64 vcc_lo, 0x7f800000, |v32|
	v_med3_num_f32 v36, v32, s89, 0xc7600000
	s_wait_alu 0xfffd
	v_cndmask_b32_e32 v32, v36, v32, vcc_lo
	v_mov_b32_e32 v36, 0
	s_delay_alu instid0(VALU_DEP_1) | instskip(NEXT) | instid1(VALU_DEP_1)
	v_cvt_pk_bf8_f32 v36, v32, v32
	v_lshlrev_b32_e32 v32, 8, v36
	v_lshrrev_b32_e32 v36, 24, v18
	v_bfe_u32 v18, v18, 16, 8
	s_delay_alu instid0(VALU_DEP_3) | instskip(SKIP_1) | instid1(VALU_DEP_3)
	v_perm_b32 v32, v32, v33, 0xc0c0500
	v_and_b32_e32 v33, 0xff, v35
	v_cvt_f32_bf8_e32 v18, v18
	s_delay_alu instid0(VALU_DEP_2) | instskip(NEXT) | instid1(VALU_DEP_2)
	v_cvt_f32_bf8_e32 v33, v33
	v_mul_f32_e32 v18, v18, v34
	s_delay_alu instid0(VALU_DEP_1) | instskip(SKIP_2) | instid1(VALU_DEP_1)
	v_cmp_nlg_f32_e64 vcc_lo, 0x7f800000, |v18|
	v_med3_num_f32 v34, v18, s89, 0xc7600000
	s_wait_alu 0xfffd
	v_cndmask_b32_e32 v18, v34, v18, vcc_lo
	v_mov_b32_e32 v34, 0
	s_delay_alu instid0(VALU_DEP_1) | instskip(NEXT) | instid1(VALU_DEP_1)
	v_cvt_pk_bf8_f32 v34, v18, v18
	v_and_b32_e32 v18, 0xff, v34
	v_cvt_f32_bf8_e32 v34, v36
	v_cvt_f32_bf8_e32 v36, v37
	s_delay_alu instid0(VALU_DEP_3) | instskip(NEXT) | instid1(VALU_DEP_2)
	v_lshlrev_b32_e32 v18, 16, v18
	v_mul_f32_e32 v34, v34, v36
	s_delay_alu instid0(VALU_DEP_1) | instskip(SKIP_2) | instid1(VALU_DEP_1)
	v_cmp_nlg_f32_e64 vcc_lo, 0x7f800000, |v34|
	v_med3_num_f32 v36, v34, s89, 0xc7600000
	s_wait_alu 0xfffd
	v_cndmask_b32_e32 v34, v36, v34, vcc_lo
	v_mov_b32_e32 v36, 0
	s_delay_alu instid0(VALU_DEP_1) | instskip(NEXT) | instid1(VALU_DEP_1)
	v_cvt_pk_bf8_f32 v36, v34, v34
	v_lshlrev_b32_e32 v34, 24, v36
	v_lshrrev_b32_e32 v36, 24, v35
	s_delay_alu instid0(VALU_DEP_2) | instskip(SKIP_3) | instid1(VALU_DEP_3)
	v_or3_b32 v18, v34, v18, v32
	v_and_b32_e32 v32, 0xff, v19
	v_bfe_u32 v34, v35, 8, 8
	v_bfe_u32 v35, v35, 16, 8
	v_cvt_f32_bf8_e32 v32, v32
	s_delay_alu instid0(VALU_DEP_3) | instskip(NEXT) | instid1(VALU_DEP_3)
	v_cvt_f32_bf8_e32 v34, v34
	v_cvt_f32_bf8_e32 v35, v35
	s_delay_alu instid0(VALU_DEP_3) | instskip(NEXT) | instid1(VALU_DEP_1)
	v_mul_f32_e32 v32, v32, v33
	v_cmp_nlg_f32_e64 vcc_lo, 0x7f800000, |v32|
	v_med3_num_f32 v33, v32, s89, 0xc7600000
	s_wait_alu 0xfffd
	s_delay_alu instid0(VALU_DEP_1) | instskip(NEXT) | instid1(VALU_DEP_1)
	v_dual_cndmask_b32 v32, v33, v32 :: v_dual_mov_b32 v33, 0
	v_cvt_pk_bf8_f32 v33, v32, v32
	v_bfe_u32 v32, v19, 8, 8
	s_delay_alu instid0(VALU_DEP_1) | instskip(NEXT) | instid1(VALU_DEP_1)
	v_cvt_f32_bf8_e32 v32, v32
	v_mul_f32_e32 v32, v32, v34
	s_delay_alu instid0(VALU_DEP_1) | instskip(SKIP_2) | instid1(VALU_DEP_1)
	v_cmp_nlg_f32_e64 vcc_lo, 0x7f800000, |v32|
	v_med3_num_f32 v34, v32, s89, 0xc7600000
	s_wait_alu 0xfffd
	v_cndmask_b32_e32 v32, v34, v32, vcc_lo
	v_mov_b32_e32 v34, 0
	s_delay_alu instid0(VALU_DEP_1) | instskip(NEXT) | instid1(VALU_DEP_1)
	v_cvt_pk_bf8_f32 v34, v32, v32
	v_lshlrev_b32_e32 v32, 8, v34
	v_lshrrev_b32_e32 v34, 24, v19
	v_bfe_u32 v19, v19, 16, 8
	s_delay_alu instid0(VALU_DEP_3) | instskip(NEXT) | instid1(VALU_DEP_3)
	v_perm_b32 v32, v32, v33, 0xc0c0500
	v_cvt_f32_bf8_e32 v34, v34
	s_delay_alu instid0(VALU_DEP_3) | instskip(SKIP_2) | instid1(VALU_DEP_2)
	v_cvt_f32_bf8_e32 v19, v19
	s_wait_loadcnt 0x0
	v_and_b32_e32 v33, 0xff, v24
	v_mul_f32_e32 v19, v19, v35
	s_delay_alu instid0(VALU_DEP_2) | instskip(NEXT) | instid1(VALU_DEP_2)
	v_cvt_f32_bf8_e32 v33, v33
	v_cmp_nlg_f32_e64 vcc_lo, 0x7f800000, |v19|
	v_med3_num_f32 v35, v19, s89, 0xc7600000
	s_wait_alu 0xfffd
	s_delay_alu instid0(VALU_DEP_1) | instskip(SKIP_1) | instid1(VALU_DEP_1)
	v_cndmask_b32_e32 v19, v35, v19, vcc_lo
	v_mov_b32_e32 v35, 0
	v_cvt_pk_bf8_f32 v35, v19, v19
	s_delay_alu instid0(VALU_DEP_1) | instskip(SKIP_1) | instid1(VALU_DEP_2)
	v_and_b32_e32 v19, 0xff, v35
	v_cvt_f32_bf8_e32 v35, v36
	v_lshlrev_b32_e32 v19, 16, v19
	s_delay_alu instid0(VALU_DEP_2) | instskip(NEXT) | instid1(VALU_DEP_1)
	v_mul_f32_e32 v34, v34, v35
	v_cmp_nlg_f32_e64 vcc_lo, 0x7f800000, |v34|
	v_med3_num_f32 v35, v34, s89, 0xc7600000
	s_wait_alu 0xfffd
	s_delay_alu instid0(VALU_DEP_1) | instskip(NEXT) | instid1(VALU_DEP_1)
	v_dual_cndmask_b32 v34, v35, v34 :: v_dual_mov_b32 v35, 0
	v_cvt_pk_bf8_f32 v35, v34, v34
	s_delay_alu instid0(VALU_DEP_1) | instskip(SKIP_1) | instid1(VALU_DEP_2)
	v_lshlrev_b32_e32 v34, 24, v35
	v_lshrrev_b32_e32 v35, 24, v24
	v_or3_b32 v19, v34, v19, v32
	v_and_b32_e32 v32, 0xff, v20
	v_bfe_u32 v34, v24, 8, 8
	v_bfe_u32 v24, v24, 16, 8
	s_delay_alu instid0(VALU_DEP_3) | instskip(NEXT) | instid1(VALU_DEP_3)
	v_cvt_f32_bf8_e32 v32, v32
	v_cvt_f32_bf8_e32 v34, v34
	s_delay_alu instid0(VALU_DEP_3) | instskip(NEXT) | instid1(VALU_DEP_3)
	v_cvt_f32_bf8_e32 v24, v24
	v_mul_f32_e32 v32, v32, v33
	s_delay_alu instid0(VALU_DEP_1) | instskip(SKIP_2) | instid1(VALU_DEP_1)
	v_cmp_nlg_f32_e64 vcc_lo, 0x7f800000, |v32|
	v_med3_num_f32 v33, v32, s89, 0xc7600000
	s_wait_alu 0xfffd
	v_dual_cndmask_b32 v32, v33, v32 :: v_dual_mov_b32 v33, 0
	s_delay_alu instid0(VALU_DEP_1) | instskip(SKIP_1) | instid1(VALU_DEP_1)
	v_cvt_pk_bf8_f32 v33, v32, v32
	v_bfe_u32 v32, v20, 8, 8
	v_cvt_f32_bf8_e32 v32, v32
	s_delay_alu instid0(VALU_DEP_1) | instskip(NEXT) | instid1(VALU_DEP_1)
	v_mul_f32_e32 v32, v32, v34
	v_cmp_nlg_f32_e64 vcc_lo, 0x7f800000, |v32|
	v_med3_num_f32 v34, v32, s89, 0xc7600000
	s_wait_alu 0xfffd
	s_delay_alu instid0(VALU_DEP_1) | instskip(SKIP_1) | instid1(VALU_DEP_1)
	v_cndmask_b32_e32 v32, v34, v32, vcc_lo
	v_mov_b32_e32 v34, 0
	v_cvt_pk_bf8_f32 v34, v32, v32
	s_delay_alu instid0(VALU_DEP_1) | instskip(SKIP_2) | instid1(VALU_DEP_3)
	v_lshlrev_b32_e32 v32, 8, v34
	v_lshrrev_b32_e32 v34, 24, v20
	v_bfe_u32 v20, v20, 16, 8
	v_perm_b32 v32, v32, v33, 0xc0c0500
	v_bfe_u32 v33, v25, 8, 8
	s_delay_alu instid0(VALU_DEP_3) | instskip(NEXT) | instid1(VALU_DEP_2)
	v_cvt_f32_bf8_e32 v20, v20
	v_cvt_f32_bf8_e32 v33, v33
	s_delay_alu instid0(VALU_DEP_2) | instskip(NEXT) | instid1(VALU_DEP_1)
	v_mul_f32_e32 v20, v20, v24
	v_cmp_nlg_f32_e64 vcc_lo, 0x7f800000, |v20|
	v_med3_num_f32 v24, v20, s89, 0xc7600000
	s_wait_alu 0xfffd
	s_delay_alu instid0(VALU_DEP_1) | instskip(SKIP_1) | instid1(VALU_DEP_1)
	v_cndmask_b32_e32 v20, v24, v20, vcc_lo
	v_mov_b32_e32 v24, 0
	v_cvt_pk_bf8_f32 v24, v20, v20
	s_delay_alu instid0(VALU_DEP_1) | instskip(SKIP_2) | instid1(VALU_DEP_3)
	v_and_b32_e32 v20, 0xff, v24
	v_cvt_f32_bf8_e32 v24, v34
	v_cvt_f32_bf8_e32 v34, v35
	v_lshlrev_b32_e32 v20, 16, v20
	s_delay_alu instid0(VALU_DEP_2) | instskip(NEXT) | instid1(VALU_DEP_1)
	v_mul_f32_e32 v24, v24, v34
	v_cmp_nlg_f32_e64 vcc_lo, 0x7f800000, |v24|
	v_med3_num_f32 v34, v24, s89, 0xc7600000
	s_wait_alu 0xfffd
	s_delay_alu instid0(VALU_DEP_1) | instskip(SKIP_1) | instid1(VALU_DEP_1)
	v_cndmask_b32_e32 v24, v34, v24, vcc_lo
	v_mov_b32_e32 v34, 0
	v_cvt_pk_bf8_f32 v34, v24, v24
	s_delay_alu instid0(VALU_DEP_1) | instskip(SKIP_1) | instid1(VALU_DEP_2)
	v_lshlrev_b32_e32 v24, 24, v34
	v_lshrrev_b32_e32 v34, 24, v25
	v_or3_b32 v20, v24, v20, v32
	v_and_b32_e32 v24, 0xff, v21
	v_and_b32_e32 v32, 0xff, v25
	v_bfe_u32 v25, v25, 16, 8
	s_delay_alu instid0(VALU_DEP_3) | instskip(NEXT) | instid1(VALU_DEP_3)
	v_cvt_f32_bf8_e32 v24, v24
	v_cvt_f32_bf8_e32 v32, v32
	s_delay_alu instid0(VALU_DEP_3) | instskip(NEXT) | instid1(VALU_DEP_2)
	v_cvt_f32_bf8_e32 v25, v25
	v_mul_f32_e32 v24, v24, v32
	s_delay_alu instid0(VALU_DEP_1) | instskip(SKIP_2) | instid1(VALU_DEP_1)
	v_cmp_nlg_f32_e64 vcc_lo, 0x7f800000, |v24|
	v_med3_num_f32 v32, v24, s89, 0xc7600000
	s_wait_alu 0xfffd
	v_cndmask_b32_e32 v24, v32, v24, vcc_lo
	v_mov_b32_e32 v32, 0
	s_delay_alu instid0(VALU_DEP_1) | instskip(SKIP_1) | instid1(VALU_DEP_1)
	v_cvt_pk_bf8_f32 v32, v24, v24
	v_bfe_u32 v24, v21, 8, 8
	v_cvt_f32_bf8_e32 v24, v24
	s_delay_alu instid0(VALU_DEP_1) | instskip(NEXT) | instid1(VALU_DEP_1)
	v_mul_f32_e32 v24, v24, v33
	v_cmp_nlg_f32_e64 vcc_lo, 0x7f800000, |v24|
	v_med3_num_f32 v33, v24, s89, 0xc7600000
	s_wait_alu 0xfffd
	s_delay_alu instid0(VALU_DEP_1) | instskip(NEXT) | instid1(VALU_DEP_1)
	v_dual_cndmask_b32 v24, v33, v24 :: v_dual_mov_b32 v33, 0
	v_cvt_pk_bf8_f32 v33, v24, v24
	s_delay_alu instid0(VALU_DEP_1) | instskip(SKIP_2) | instid1(VALU_DEP_3)
	v_lshlrev_b32_e32 v24, 8, v33
	v_lshrrev_b32_e32 v33, 24, v21
	v_bfe_u32 v21, v21, 16, 8
	v_perm_b32 v24, v24, v32, 0xc0c0500
	v_bfe_u32 v32, v26, 8, 8
	s_delay_alu instid0(VALU_DEP_3) | instskip(NEXT) | instid1(VALU_DEP_2)
	v_cvt_f32_bf8_e32 v21, v21
	v_cvt_f32_bf8_e32 v32, v32
	s_delay_alu instid0(VALU_DEP_2) | instskip(NEXT) | instid1(VALU_DEP_1)
	v_mul_f32_e32 v21, v21, v25
	v_cmp_nlg_f32_e64 vcc_lo, 0x7f800000, |v21|
	v_med3_num_f32 v25, v21, s89, 0xc7600000
	s_wait_alu 0xfffd
	s_delay_alu instid0(VALU_DEP_1) | instskip(SKIP_1) | instid1(VALU_DEP_1)
	v_cndmask_b32_e32 v21, v25, v21, vcc_lo
	v_mov_b32_e32 v25, 0
	v_cvt_pk_bf8_f32 v25, v21, v21
	s_delay_alu instid0(VALU_DEP_1) | instskip(SKIP_2) | instid1(VALU_DEP_3)
	v_and_b32_e32 v21, 0xff, v25
	v_cvt_f32_bf8_e32 v25, v33
	v_cvt_f32_bf8_e32 v33, v34
	v_lshlrev_b32_e32 v21, 16, v21
	s_delay_alu instid0(VALU_DEP_2) | instskip(NEXT) | instid1(VALU_DEP_1)
	v_mul_f32_e32 v25, v25, v33
	v_cmp_nlg_f32_e64 vcc_lo, 0x7f800000, |v25|
	v_med3_num_f32 v33, v25, s89, 0xc7600000
	s_wait_alu 0xfffd
	s_delay_alu instid0(VALU_DEP_1) | instskip(SKIP_1) | instid1(VALU_DEP_1)
	v_cndmask_b32_e32 v25, v33, v25, vcc_lo
	v_mov_b32_e32 v33, 0
	v_cvt_pk_bf8_f32 v33, v25, v25
	s_delay_alu instid0(VALU_DEP_1) | instskip(SKIP_1) | instid1(VALU_DEP_2)
	v_lshlrev_b32_e32 v25, 24, v33
	v_lshrrev_b32_e32 v33, 24, v26
	v_or3_b32 v21, v25, v21, v24
	v_and_b32_e32 v24, 0xff, v22
	v_and_b32_e32 v25, 0xff, v26
	v_bfe_u32 v26, v26, 16, 8
	s_delay_alu instid0(VALU_DEP_3) | instskip(NEXT) | instid1(VALU_DEP_3)
	v_cvt_f32_bf8_e32 v24, v24
	v_cvt_f32_bf8_e32 v25, v25
	s_delay_alu instid0(VALU_DEP_3) | instskip(NEXT) | instid1(VALU_DEP_2)
	v_cvt_f32_bf8_e32 v26, v26
	v_mul_f32_e32 v24, v24, v25
	s_delay_alu instid0(VALU_DEP_1) | instskip(SKIP_2) | instid1(VALU_DEP_1)
	v_cmp_nlg_f32_e64 vcc_lo, 0x7f800000, |v24|
	v_med3_num_f32 v25, v24, s89, 0xc7600000
	s_wait_alu 0xfffd
	v_dual_cndmask_b32 v24, v25, v24 :: v_dual_mov_b32 v25, 0
	s_delay_alu instid0(VALU_DEP_1) | instskip(SKIP_1) | instid1(VALU_DEP_1)
	v_cvt_pk_bf8_f32 v25, v24, v24
	v_bfe_u32 v24, v22, 8, 8
	v_cvt_f32_bf8_e32 v24, v24
	s_delay_alu instid0(VALU_DEP_1) | instskip(NEXT) | instid1(VALU_DEP_1)
	v_mul_f32_e32 v24, v24, v32
	v_cmp_nlg_f32_e64 vcc_lo, 0x7f800000, |v24|
	v_med3_num_f32 v32, v24, s89, 0xc7600000
	s_wait_alu 0xfffd
	s_delay_alu instid0(VALU_DEP_1) | instskip(SKIP_1) | instid1(VALU_DEP_1)
	v_cndmask_b32_e32 v24, v32, v24, vcc_lo
	v_mov_b32_e32 v32, 0
	v_cvt_pk_bf8_f32 v32, v24, v24
	s_delay_alu instid0(VALU_DEP_1) | instskip(SKIP_2) | instid1(VALU_DEP_3)
	v_lshlrev_b32_e32 v24, 8, v32
	v_lshrrev_b32_e32 v32, 24, v22
	v_bfe_u32 v22, v22, 16, 8
	v_perm_b32 v24, v24, v25, 0xc0c0500
	v_and_b32_e32 v25, 0xff, v27
	s_delay_alu instid0(VALU_DEP_3) | instskip(NEXT) | instid1(VALU_DEP_2)
	v_cvt_f32_bf8_e32 v22, v22
	v_cvt_f32_bf8_e32 v25, v25
	s_delay_alu instid0(VALU_DEP_2) | instskip(NEXT) | instid1(VALU_DEP_1)
	v_mul_f32_e32 v22, v22, v26
	v_cmp_nlg_f32_e64 vcc_lo, 0x7f800000, |v22|
	v_med3_num_f32 v26, v22, s89, 0xc7600000
	s_wait_alu 0xfffd
	s_delay_alu instid0(VALU_DEP_1) | instskip(SKIP_1) | instid1(VALU_DEP_1)
	v_cndmask_b32_e32 v22, v26, v22, vcc_lo
	v_mov_b32_e32 v26, 0
	v_cvt_pk_bf8_f32 v26, v22, v22
	s_delay_alu instid0(VALU_DEP_1) | instskip(SKIP_2) | instid1(VALU_DEP_3)
	v_and_b32_e32 v22, 0xff, v26
	v_cvt_f32_bf8_e32 v26, v32
	v_cvt_f32_bf8_e32 v32, v33
	v_lshlrev_b32_e32 v22, 16, v22
	s_delay_alu instid0(VALU_DEP_2) | instskip(NEXT) | instid1(VALU_DEP_1)
	v_mul_f32_e32 v26, v26, v32
	v_cmp_nlg_f32_e64 vcc_lo, 0x7f800000, |v26|
	v_med3_num_f32 v32, v26, s89, 0xc7600000
	s_wait_alu 0xfffd
	s_delay_alu instid0(VALU_DEP_1) | instskip(SKIP_1) | instid1(VALU_DEP_1)
	v_cndmask_b32_e32 v26, v32, v26, vcc_lo
	v_mov_b32_e32 v32, 0
	v_cvt_pk_bf8_f32 v32, v26, v26
	s_delay_alu instid0(VALU_DEP_1) | instskip(SKIP_1) | instid1(VALU_DEP_2)
	v_lshlrev_b32_e32 v26, 24, v32
	v_lshrrev_b32_e32 v32, 24, v27
	v_or3_b32 v22, v26, v22, v24
	v_and_b32_e32 v24, 0xff, v23
	v_bfe_u32 v26, v27, 8, 8
	v_bfe_u32 v27, v27, 16, 8
	s_delay_alu instid0(VALU_DEP_3) | instskip(NEXT) | instid1(VALU_DEP_3)
	v_cvt_f32_bf8_e32 v24, v24
	v_cvt_f32_bf8_e32 v26, v26
	s_delay_alu instid0(VALU_DEP_3) | instskip(NEXT) | instid1(VALU_DEP_3)
	v_cvt_f32_bf8_e32 v27, v27
	v_mul_f32_e32 v24, v24, v25
	s_delay_alu instid0(VALU_DEP_1) | instskip(SKIP_2) | instid1(VALU_DEP_1)
	v_cmp_nlg_f32_e64 vcc_lo, 0x7f800000, |v24|
	v_med3_num_f32 v25, v24, s89, 0xc7600000
	s_wait_alu 0xfffd
	v_dual_cndmask_b32 v24, v25, v24 :: v_dual_mov_b32 v25, 0
	s_delay_alu instid0(VALU_DEP_1) | instskip(SKIP_1) | instid1(VALU_DEP_1)
	v_cvt_pk_bf8_f32 v25, v24, v24
	v_bfe_u32 v24, v23, 8, 8
	v_cvt_f32_bf8_e32 v24, v24
	s_delay_alu instid0(VALU_DEP_1) | instskip(NEXT) | instid1(VALU_DEP_1)
	v_mul_f32_e32 v24, v24, v26
	v_cmp_nlg_f32_e64 vcc_lo, 0x7f800000, |v24|
	v_med3_num_f32 v26, v24, s89, 0xc7600000
	s_wait_alu 0xfffd
	s_delay_alu instid0(VALU_DEP_1) | instskip(SKIP_1) | instid1(VALU_DEP_1)
	v_cndmask_b32_e32 v24, v26, v24, vcc_lo
	v_mov_b32_e32 v26, 0
	v_cvt_pk_bf8_f32 v26, v24, v24
	s_delay_alu instid0(VALU_DEP_1) | instskip(SKIP_2) | instid1(VALU_DEP_3)
	v_lshlrev_b32_e32 v24, 8, v26
	v_lshrrev_b32_e32 v26, 24, v23
	v_bfe_u32 v23, v23, 16, 8
	v_perm_b32 v24, v24, v25, 0xc0c0500
	s_delay_alu instid0(VALU_DEP_3) | instskip(NEXT) | instid1(VALU_DEP_3)
	v_cvt_f32_bf8_e32 v26, v26
	v_cvt_f32_bf8_e32 v23, v23
	s_delay_alu instid0(VALU_DEP_1) | instskip(NEXT) | instid1(VALU_DEP_1)
	v_mul_f32_e32 v23, v23, v27
	v_cmp_nlg_f32_e64 vcc_lo, 0x7f800000, |v23|
	v_med3_num_f32 v27, v23, s89, 0xc7600000
	s_wait_alu 0xfffd
	s_delay_alu instid0(VALU_DEP_1) | instskip(SKIP_1) | instid1(VALU_DEP_1)
	v_cndmask_b32_e32 v23, v27, v23, vcc_lo
	v_mov_b32_e32 v27, 0
	v_cvt_pk_bf8_f32 v27, v23, v23
	s_delay_alu instid0(VALU_DEP_1) | instskip(SKIP_1) | instid1(VALU_DEP_2)
	v_and_b32_e32 v23, 0xff, v27
	v_cvt_f32_bf8_e32 v27, v32
	v_lshlrev_b32_e32 v23, 16, v23
	s_delay_alu instid0(VALU_DEP_2) | instskip(NEXT) | instid1(VALU_DEP_1)
	v_mul_f32_e32 v26, v26, v27
	v_cmp_nlg_f32_e64 vcc_lo, 0x7f800000, |v26|
	v_med3_num_f32 v27, v26, s89, 0xc7600000
	s_wait_alu 0xfffd
	s_delay_alu instid0(VALU_DEP_1) | instskip(SKIP_3) | instid1(VALU_DEP_3)
	v_dual_cndmask_b32 v26, v27, v26 :: v_dual_mov_b32 v27, 0
	v_add_co_u32 v114, vcc_lo, v114, v151
	s_wait_alu 0xfffd
	v_add_co_ci_u32_e64 v115, null, 0, v115, vcc_lo
	v_cvt_pk_bf8_f32 v27, v26, v26
	v_add_co_u32 v116, vcc_lo, v116, v151
	s_wait_alu 0xfffd
	v_add_co_ci_u32_e64 v117, null, 0, v117, vcc_lo
	s_delay_alu instid0(VALU_DEP_3) | instskip(NEXT) | instid1(VALU_DEP_1)
	v_lshlrev_b32_e32 v26, 24, v27
	v_or3_b32 v23, v26, v23, v24
	s_clause 0x3
	global_store_b128 v[118:119], v[8:11], off th:TH_STORE_NT
	global_store_b128 v[118:119], v[12:15], off offset:512 th:TH_STORE_NT
	global_store_b128 v[118:119], v[16:19], off offset:1024 th:TH_STORE_NT
	;; [unrolled: 1-line block ×3, first 2 shown]
	v_add_co_u32 v118, vcc_lo, v118, v151
	s_wait_alu 0xfffd
	v_add_co_ci_u32_e64 v119, null, 0, v119, vcc_lo
	v_cmp_gt_i32_e32 vcc_lo, 1, v128
	s_wait_alu 0xfffe
	s_or_b32 s14, vcc_lo, s14
	s_wait_alu 0xfffe
	s_and_not1_b32 exec_lo, exec_lo, s14
	s_cbranch_execnz .LBB6_610
; %bb.611:                              ;   in Loop: Header=BB6_495 Depth=2
	s_or_b32 exec_lo, exec_lo, s14
.LBB6_612:                              ;   in Loop: Header=BB6_495 Depth=2
	s_wait_alu 0xfffe
	s_or_b32 exec_lo, exec_lo, s13
	v_dual_mov_b32 v14, 0 :: v_dual_lshlrev_b32 v17, 11, v129
	s_mov_b32 s13, 0
	s_mov_b32 s40, exec_lo
                                        ; implicit-def: $vgpr15
                                        ; implicit-def: $vgpr16
                                        ; implicit-def: $vgpr8
	s_delay_alu instid0(VALU_DEP_1)
	v_cmpx_ne_u32_e64 v42, v17
	s_cbranch_execz .LBB6_620
; %bb.613:                              ;   in Loop: Header=BB6_495 Depth=2
	v_lshlrev_b32_e32 v8, 5, v128
	v_sub_nc_u32_e32 v10, v42, v17
	s_mov_b32 s41, exec_lo
	s_delay_alu instid0(VALU_DEP_2) | instskip(NEXT) | instid1(VALU_DEP_2)
	v_sub_nc_u32_e32 v8, v165, v8
	v_ashrrev_i32_e32 v11, 31, v10
	s_delay_alu instid0(VALU_DEP_2) | instskip(NEXT) | instid1(VALU_DEP_2)
	v_ashrrev_i32_e32 v9, 31, v8
	v_lshrrev_b32_e32 v11, 23, v11
	s_delay_alu instid0(VALU_DEP_2) | instskip(NEXT) | instid1(VALU_DEP_2)
	v_lshrrev_b32_e32 v9, 27, v9
	v_add_nc_u32_e32 v11, v10, v11
	s_delay_alu instid0(VALU_DEP_2) | instskip(NEXT) | instid1(VALU_DEP_2)
	v_add_nc_u32_e32 v9, v8, v9
	v_and_b32_e32 v18, 0xfffffe00, v11
	v_ashrrev_i32_e32 v11, 9, v11
	s_delay_alu instid0(VALU_DEP_3) | instskip(NEXT) | instid1(VALU_DEP_3)
	v_and_b32_e32 v12, 0xffffffe0, v9
	v_sub_nc_u32_e32 v20, v10, v18
	v_ashrrev_i32_e32 v9, 5, v9
	s_delay_alu instid0(VALU_DEP_3) | instskip(NEXT) | instid1(VALU_DEP_3)
	v_sub_nc_u32_e32 v19, v8, v12
	v_cmp_lt_i32_e32 vcc_lo, 15, v20
	s_delay_alu instid0(VALU_DEP_2) | instskip(SKIP_2) | instid1(VALU_DEP_2)
	v_lshlrev_b32_e32 v8, 4, v19
	s_wait_alu 0xfffd
	v_add_co_ci_u32_e64 v11, null, 0, v11, vcc_lo
	v_lshl_add_u32 v8, v9, 9, v8
	s_delay_alu instid0(VALU_DEP_2) | instskip(NEXT) | instid1(VALU_DEP_2)
	v_sub_nc_u32_e32 v21, v11, v9
	v_sub_nc_u32_e32 v14, v10, v8
	s_delay_alu instid0(VALU_DEP_1)
	v_cmpx_lt_i32_e32 15, v14
	s_cbranch_execz .LBB6_617
; %bb.614:                              ;   in Loop: Header=BB6_495 Depth=2
	s_trap 2
	ds_load_b64 v[10:11], v0
	v_add_nc_u32_e32 v12, v8, v17
	s_mov_b32 s42, 0
	s_delay_alu instid0(VALU_DEP_1) | instskip(SKIP_2) | instid1(VALU_DEP_2)
	v_ashrrev_i32_e32 v13, 31, v12
	v_add_co_u32 v8, s13, v12, v101
	s_wait_alu 0xf1fe
	v_add_co_ci_u32_e64 v9, null, v13, v102, s13
	s_wait_dscnt 0x0
	v_add_co_u32 v10, s13, v10, v12
	s_wait_alu 0xf1ff
	v_add_co_ci_u32_e64 v11, null, v11, v13, s13
	v_add_co_u32 v12, s13, v12, v112
	s_wait_alu 0xf1ff
	v_add_co_ci_u32_e64 v13, null, v13, v113, s13
.LBB6_615:                              ;   Parent Loop BB6_47 Depth=1
                                        ;     Parent Loop BB6_495 Depth=2
                                        ; =>    This Inner Loop Header: Depth=3
	global_load_b128 v[22:25], v[10:11], off th:TH_LOAD_NT
	global_load_b128 v[32:35], v[8:9], off th:TH_LOAD_NT
	v_dual_mov_b32 v15, 0 :: v_dual_mov_b32 v16, 0
	v_dual_mov_b32 v26, 0 :: v_dual_mov_b32 v27, 0
	;; [unrolled: 1-line block ×8, first 2 shown]
	v_sub_nc_u32_e32 v14, v14, v149
	v_add_co_u32 v8, s13, v8, v149
	s_wait_alu 0xf1ff
	v_add_co_ci_u32_e64 v9, null, 0, v9, s13
	v_add_co_u32 v10, s13, v10, v149
	s_wait_alu 0xf1ff
	v_add_co_ci_u32_e64 v11, null, 0, v11, s13
	v_cmp_gt_i32_e64 s13, 16, v14
	v_sub_nc_u32_e32 v21, v21, v135
	s_or_b32 s42, s13, s42
	s_wait_loadcnt 0x1
	v_bfe_u32 v130, v23, 8, 8
	s_wait_loadcnt 0x0
	v_bfe_u32 v61, v33, 8, 8
	v_bfe_u32 v119, v22, 8, 8
	v_lshrrev_b32_e32 v128, 24, v22
	v_lshrrev_b32_e32 v131, 24, v23
	v_cvt_f32_bf8_e32 v130, v130
	v_cvt_f32_bf8_e32 v61, v61
	v_and_b32_e32 v118, 0xff, v22
	v_bfe_u32 v22, v22, 16, 8
	v_lshrrev_b32_e32 v62, 24, v33
	v_bfe_u32 v58, v32, 8, 8
	v_lshrrev_b32_e32 v59, 24, v32
	v_cvt_f32_bf8_e32 v131, v131
	v_cvt_f32_bf8_e32 v22, v22
	v_and_b32_e32 v63, 0xff, v34
	v_cvt_f32_bf8_e32 v62, v62
	v_and_b32_e32 v60, 0xff, v33
	v_bfe_u32 v33, v33, 16, 8
	v_bfe_u32 v44, v24, 8, 8
	v_cvt_f32_bf8_e32 v63, v63
	v_and_b32_e32 v57, 0xff, v32
	v_lshrrev_b32_e32 v45, 24, v24
	v_bfe_u32 v47, v25, 8, 8
	v_lshrrev_b32_e32 v56, 24, v25
	v_bfe_u32 v32, v32, 16, 8
	v_cvt_f32_bf8_e32 v57, v57
	v_and_b32_e32 v129, 0xff, v23
	v_bfe_u32 v23, v23, 16, 8
	v_bfe_u32 v72, v34, 8, 8
	v_lshrrev_b32_e32 v73, 24, v34
	v_bfe_u32 v34, v34, 16, 8
	v_bfe_u32 v75, v35, 8, 8
	v_lshrrev_b32_e32 v76, 24, v35
	v_cvt_f32_bf8_e32 v119, v119
	v_cvt_f32_bf8_e32 v128, v128
	;; [unrolled: 1-line block ×4, first 2 shown]
	v_and_b32_e32 v46, 0xff, v25
	v_bfe_u32 v25, v25, 16, 8
	v_cvt_f32_bf8_e32 v59, v59
	v_and_b32_e32 v43, 0xff, v24
	v_bfe_u32 v24, v24, 16, 8
	v_cvt_f32_bf8_e32 v33, v33
	;; [unrolled: 3-line block ×3, first 2 shown]
	v_cvt_f32_bf8_e32 v44, v44
	v_cvt_f32_bf8_e32 v24, v24
	;; [unrolled: 1-line block ×9, first 2 shown]
	v_mul_f32_e32 v23, v23, v33
	v_mul_f32_e32 v33, v131, v62
	v_cvt_f32_bf8_e32 v60, v60
	v_cvt_f32_bf8_e32 v45, v45
	;; [unrolled: 1-line block ×6, first 2 shown]
	v_mul_f32_e32 v119, v119, v58
	v_cvt_f32_bf8_e32 v46, v46
	v_mul_f32_e32 v22, v22, v32
	v_mul_f32_e32 v32, v128, v59
	v_cvt_f32_bf8_e32 v43, v43
	v_dual_mul_f32 v128, v129, v60 :: v_dual_mul_f32 v129, v130, v61
	v_cvt_f32_bf8_e32 v118, v118
	v_mul_f32_e32 v131, v44, v72
	v_dual_mul_f32 v24, v24, v34 :: v_dual_mul_f32 v25, v25, v35
	v_dual_mul_f32 v44, v47, v75 :: v_dual_mul_f32 v35, v56, v76
	s_delay_alu instid0(VALU_DEP_4)
	v_mul_f32_e32 v118, v118, v57
	v_mul_f32_e32 v130, v43, v63
	v_dual_mul_f32 v34, v45, v73 :: v_dual_mul_f32 v43, v46, v74
	v_med3_num_f32 v46, v119, s89, 0xc7600000
	v_cmp_nlg_f32_e64 s14, 0x7f800000, |v119|
	v_med3_num_f32 v47, v22, s89, 0xc7600000
	v_cmp_nlg_f32_e64 s15, 0x7f800000, |v22|
	;; [unrolled: 2-line block ×9, first 2 shown]
	v_med3_num_f32 v45, v118, s89, 0xc7600000
	v_med3_num_f32 v57, v128, s89, 0xc7600000
	v_cmp_nlg_f32_e64 s17, 0x7f800000, |v128|
	v_med3_num_f32 v60, v33, s89, 0xc7600000
	v_cmp_nlg_f32_e64 s20, 0x7f800000, |v33|
	;; [unrolled: 2-line block ×6, first 2 shown]
	v_cmp_nlg_f32_e64 s29, 0x7f800000, |v118|
	s_wait_alu 0xf1ff
	v_cndmask_b32_e64 v119, v46, v119, s14
	v_cndmask_b32_e64 v22, v47, v22, s15
	;; [unrolled: 1-line block ×16, first 2 shown]
	v_cvt_pk_bf8_f32 v16, v119, v119
	v_cvt_pk_bf8_f32 v26, v22, v22
	;; [unrolled: 1-line block ×16, first 2 shown]
	v_lshlrev_b32_e32 v16, 8, v16
	v_and_b32_e32 v22, 0xff, v26
	v_lshlrev_b32_e32 v23, 24, v27
	v_lshlrev_b32_e32 v24, 8, v37
	v_and_b32_e32 v25, 0xff, v38
	v_lshlrev_b32_e32 v27, 8, v49
	v_and_b32_e32 v32, 0xff, v50
	;; [unrolled: 2-line block ×3, first 2 shown]
	v_lshlrev_b32_e32 v26, 24, v39
	v_lshlrev_b32_e32 v33, 24, v51
	;; [unrolled: 1-line block ×4, first 2 shown]
	v_perm_b32 v15, v16, v15, 0xc0c0500
	v_lshlrev_b32_e32 v16, 16, v25
	v_perm_b32 v24, v24, v36, 0xc0c0500
	v_lshlrev_b32_e32 v25, 16, v32
	;; [unrolled: 2-line block ×3, first 2 shown]
	v_perm_b32 v34, v34, v114, 0xc0c0500
	v_or3_b32 v22, v23, v22, v15
	v_or3_b32 v23, v26, v16, v24
	;; [unrolled: 1-line block ×3, first 2 shown]
	s_delay_alu instid0(VALU_DEP_4)
	v_or3_b32 v25, v37, v32, v34
	global_store_b128 v[12:13], v[22:25], off th:TH_STORE_NT
	v_add_co_u32 v12, s14, v12, v149
	s_wait_alu 0xf1ff
	v_add_co_ci_u32_e64 v13, null, 0, v13, s14
	s_wait_alu 0xfffe
	s_and_not1_b32 exec_lo, exec_lo, s42
	s_cbranch_execnz .LBB6_615
; %bb.616:                              ;   in Loop: Header=BB6_495 Depth=2
	s_or_b32 exec_lo, exec_lo, s42
.LBB6_617:                              ;   in Loop: Header=BB6_495 Depth=2
	s_wait_alu 0xfffe
	s_or_b32 exec_lo, exec_lo, s41
	v_dual_mov_b32 v14, 0 :: v_dual_and_b32 v9, 15, v42
	s_mov_b32 s14, 0
	s_mov_b32 s15, exec_lo
                                        ; implicit-def: $vgpr16
                                        ; implicit-def: $vgpr8
	s_delay_alu instid0(VALU_DEP_1) | instskip(NEXT) | instid1(VALU_DEP_1)
	v_cndmask_b32_e32 v15, v20, v9, vcc_lo
	v_cmpx_ne_u32_e32 0, v15
	s_cbranch_execz .LBB6_619
; %bb.618:                              ;   in Loop: Header=BB6_495 Depth=2
	v_cmp_lt_i32_e64 s13, 0, v21
	v_sub_nc_u32_e32 v9, v20, v9
	s_mov_b32 s14, exec_lo
	s_wait_alu 0xf1ff
	v_cndmask_b32_e64 v8, 0, v135, s13
	s_delay_alu instid0(VALU_DEP_1) | instskip(NEXT) | instid1(VALU_DEP_1)
	v_sub_nc_u32_e32 v8, v8, v21
	v_lshl_add_u32 v16, v8, 5, v19
	s_delay_alu instid0(VALU_DEP_1) | instskip(NEXT) | instid1(VALU_DEP_1)
	v_ashrrev_i32_e32 v8, 31, v16
	v_lshrrev_b32_e32 v8, 27, v8
	s_delay_alu instid0(VALU_DEP_1) | instskip(NEXT) | instid1(VALU_DEP_1)
	v_dual_cndmask_b32 v9, 0, v9 :: v_dual_add_nc_u32 v8, v16, v8
	v_add3_u32 v14, v18, v17, v9
	s_delay_alu instid0(VALU_DEP_2)
	v_ashrrev_i32_e32 v8, 5, v8
.LBB6_619:                              ;   in Loop: Header=BB6_495 Depth=2
	s_wait_alu 0xfffe
	s_or_b32 exec_lo, exec_lo, s15
	s_delay_alu instid0(SALU_CYCLE_1)
	s_and_b32 s13, s14, exec_lo
.LBB6_620:                              ;   in Loop: Header=BB6_495 Depth=2
	s_wait_alu 0xfffe
	s_or_b32 exec_lo, exec_lo, s40
	s_and_saveexec_b32 s39, s13
	s_cbranch_execz .LBB6_629
.LBB6_621:                              ;   in Loop: Header=BB6_495 Depth=2
	v_ashrrev_i32_e32 v9, 31, v15
	s_mov_b32 s48, exec_lo
	s_delay_alu instid0(VALU_DEP_1) | instskip(NEXT) | instid1(VALU_DEP_1)
	v_lshrrev_b32_e32 v9, 22, v9
	v_add_nc_u32_e32 v9, v15, v9
	s_delay_alu instid0(VALU_DEP_1) | instskip(NEXT) | instid1(VALU_DEP_1)
	v_ashrrev_i32_e32 v18, 10, v9
	v_sub_nc_u32_e32 v17, v18, v8
	s_delay_alu instid0(VALU_DEP_1)
	v_cmpx_lt_i32_e32 0, v17
	s_cbranch_execz .LBB6_625
; %bb.622:                              ;   in Loop: Header=BB6_495 Depth=2
	v_ashrrev_i32_e32 v9, 31, v16
	s_trap 2
	ds_load_b64 v[10:11], v0
	v_lshlrev_b32_e32 v8, 10, v8
	v_add_co_u32 v19, vcc_lo, 0x3e0, v112
	v_lshrrev_b32_e32 v9, 27, v9
	s_wait_alu 0xfffd
	v_add_co_ci_u32_e64 v20, null, 0, v113, vcc_lo
	s_mov_b32 s49, 0
	v_add_nc_u32_e32 v9, v16, v9
	s_delay_alu instid0(VALU_DEP_1) | instskip(NEXT) | instid1(VALU_DEP_1)
	v_and_b32_e32 v9, 0xffffffe0, v9
	v_sub_nc_u32_e32 v9, v16, v9
	s_delay_alu instid0(VALU_DEP_1) | instskip(NEXT) | instid1(VALU_DEP_1)
	v_add3_u32 v12, v14, v9, v8
	v_ashrrev_i32_e32 v13, 31, v12
	v_add_co_u32 v8, vcc_lo, v12, v101
	s_wait_alu 0xfffd
	s_delay_alu instid0(VALU_DEP_2)
	v_add_co_ci_u32_e64 v9, null, v13, v102, vcc_lo
	s_wait_dscnt 0x0
	v_add_co_u32 v10, vcc_lo, v10, v12
	s_wait_alu 0xfffd
	v_add_co_ci_u32_e64 v11, null, v11, v13, vcc_lo
	v_add_co_u32 v12, vcc_lo, v19, v12
	s_wait_alu 0xfffd
	v_add_co_ci_u32_e64 v13, null, v20, v13, vcc_lo
.LBB6_623:                              ;   Parent Loop BB6_47 Depth=1
                                        ;     Parent Loop BB6_495 Depth=2
                                        ; =>    This Inner Loop Header: Depth=3
	flat_load_u8 v49, v[8:9] th:TH_LOAD_NT
	flat_load_u8 v101, v[10:11] th:TH_LOAD_NT
	flat_load_u8 v102, v[8:9] offset:32 th:TH_LOAD_NT
	flat_load_u8 v112, v[10:11] offset:32 th:TH_LOAD_NT
	;; [unrolled: 1-line block ×62, first 2 shown]
	v_dual_mov_b32 v19, 0 :: v_dual_mov_b32 v20, 0
	v_dual_mov_b32 v21, 0 :: v_dual_mov_b32 v22, 0
	;; [unrolled: 1-line block ×16, first 2 shown]
	v_sub_nc_u32_e32 v17, v17, v135
	v_add_co_u32 v8, vcc_lo, v8, v150
	s_wait_alu 0xfffd
	v_add_co_ci_u32_e64 v9, null, 0, v9, vcc_lo
	v_add_co_u32 v10, vcc_lo, v10, v150
	s_wait_alu 0xfffd
	v_add_co_ci_u32_e64 v11, null, 0, v11, vcc_lo
	v_cmp_gt_i32_e32 vcc_lo, 1, v17
	s_wait_alu 0xfffe
	s_or_b32 s49, vcc_lo, s49
	s_wait_loadcnt_dscnt 0x3e3e
	v_cvt_f32_bf8_e32 v49, v49
	v_cvt_f32_bf8_e32 v101, v101
	s_wait_loadcnt_dscnt 0x3d3d
	v_cvt_f32_bf8_e32 v102, v102
	s_wait_loadcnt_dscnt 0x3c3c
	;; [unrolled: 2-line block ×62, first 2 shown]
	v_cvt_f32_bf8_e32 v139, v139
	v_mul_f32_e32 v49, v49, v101
	v_dual_mul_f32 v101, v102, v112 :: v_dual_mul_f32 v102, v113, v114
	v_dual_mul_f32 v112, v115, v116 :: v_dual_mul_f32 v113, v117, v118
	;; [unrolled: 1-line block ×15, first 2 shown]
	v_mul_f32_e32 v75, v138, v139
	v_med3_num_f32 v76, v49, s89, 0xc7600000
	v_cmp_nlg_f32_e64 s62, 0x7f800000, |v49|
	v_med3_num_f32 v77, v101, s89, 0xc7600000
	v_cmp_nlg_f32_e64 s13, 0x7f800000, |v101|
	;; [unrolled: 2-line block ×32, first 2 shown]
	s_wait_alu 0xf1ff
	v_cndmask_b32_e64 v49, v76, v49, s62
	v_cndmask_b32_e64 v101, v77, v101, s13
	;; [unrolled: 1-line block ×32, first 2 shown]
	v_cvt_pk_bf8_f32 v19, v49, v49
	v_cvt_pk_bf8_f32 v20, v101, v101
	;; [unrolled: 1-line block ×32, first 2 shown]
	s_clause 0x1f
	flat_store_b8 v[12:13], v19 offset:-992 th:TH_STORE_NT
	flat_store_b8 v[12:13], v20 offset:-960 th:TH_STORE_NT
	;; [unrolled: 1-line block ×31, first 2 shown]
	flat_store_b8 v[12:13], v159 th:TH_STORE_NT
	v_add_co_u32 v12, s13, v12, v150
	s_wait_alu 0xf1ff
	v_add_co_ci_u32_e64 v13, null, 0, v13, s13
	s_wait_alu 0xfffe
	s_and_not1_b32 exec_lo, exec_lo, s49
	s_cbranch_execnz .LBB6_623
; %bb.624:                              ;   in Loop: Header=BB6_495 Depth=2
	s_or_b32 exec_lo, exec_lo, s49
.LBB6_625:                              ;   in Loop: Header=BB6_495 Depth=2
	s_wait_alu 0xfffe
	s_or_b32 exec_lo, exec_lo, s48
	v_lshlrev_b32_e32 v8, 10, v18
	s_delay_alu instid0(VALU_DEP_1)
	v_cmp_ne_u32_e32 vcc_lo, v15, v8
	s_and_b32 exec_lo, exec_lo, vcc_lo
	s_cbranch_execz .LBB6_629
; %bb.626:                              ;   in Loop: Header=BB6_495 Depth=2
	v_ashrrev_i32_e32 v9, 31, v16
	v_lshlrev_b32_e32 v10, 5, v17
	s_delay_alu instid0(VALU_DEP_2) | instskip(NEXT) | instid1(VALU_DEP_1)
	v_lshrrev_b32_e32 v9, 27, v9
	v_add_nc_u32_e32 v9, v16, v9
	s_delay_alu instid0(VALU_DEP_1) | instskip(NEXT) | instid1(VALU_DEP_1)
	v_and_b32_e32 v9, 0xffffffe0, v9
	v_sub_nc_u32_e32 v9, v16, v9
	s_delay_alu instid0(VALU_DEP_1) | instskip(NEXT) | instid1(VALU_DEP_1)
	v_sub_nc_u32_e32 v9, v9, v10
	v_add_nc_u32_e32 v8, v8, v9
	s_delay_alu instid0(VALU_DEP_1) | instskip(NEXT) | instid1(VALU_DEP_1)
	v_sub_nc_u32_e32 v15, v15, v8
	v_cmp_lt_i32_e32 vcc_lo, 0, v15
	s_and_b32 exec_lo, exec_lo, vcc_lo
	s_cbranch_execz .LBB6_629
; %bb.627:                              ;   in Loop: Header=BB6_495 Depth=2
	s_trap 2
	ds_load_b128 v[9:12], v0
	ds_load_b64 v[16:17], v0
	v_add_nc_u32_e32 v13, v8, v14
	s_mov_b32 s14, 0
	s_delay_alu instid0(VALU_DEP_1) | instskip(SKIP_3) | instid1(VALU_DEP_2)
	v_ashrrev_i32_e32 v14, 31, v13
	s_wait_dscnt 0x1
	v_add_co_u32 v8, vcc_lo, v9, v13
	s_wait_alu 0xfffd
	v_add_co_ci_u32_e64 v9, null, v10, v14, vcc_lo
	v_add_co_u32 v10, vcc_lo, v11, v13
	s_wait_alu 0xfffd
	v_add_co_ci_u32_e64 v11, null, v12, v14, vcc_lo
	s_wait_dscnt 0x0
	v_add_co_u32 v12, vcc_lo, v16, v13
	s_wait_alu 0xfffd
	v_add_co_ci_u32_e64 v13, null, v17, v14, vcc_lo
.LBB6_628:                              ;   Parent Loop BB6_47 Depth=1
                                        ;     Parent Loop BB6_495 Depth=2
                                        ; =>    This Inner Loop Header: Depth=3
	flat_load_u8 v14, v[10:11] th:TH_LOAD_NT
	flat_load_u8 v16, v[8:9] th:TH_LOAD_NT
	v_sub_nc_u32_e32 v15, v15, v144
	v_add_co_u32 v8, vcc_lo, v8, v144
	s_wait_alu 0xfffd
	v_add_co_ci_u32_e64 v9, null, 0, v9, vcc_lo
	v_add_co_u32 v10, vcc_lo, v10, v144
	s_wait_alu 0xfffd
	v_add_co_ci_u32_e64 v11, null, 0, v11, vcc_lo
	v_cmp_gt_i32_e32 vcc_lo, 1, v15
	s_wait_alu 0xfffe
	s_or_b32 s14, vcc_lo, s14
	s_wait_loadcnt_dscnt 0x101
	v_cvt_f32_bf8_e32 v14, v14
	s_wait_loadcnt_dscnt 0x0
	v_cvt_f32_bf8_e32 v16, v16
	s_delay_alu instid0(VALU_DEP_1) | instskip(NEXT) | instid1(VALU_DEP_1)
	v_dual_mov_b32 v17, 0 :: v_dual_mul_f32 v14, v14, v16
	v_med3_num_f32 v16, v14, s89, 0xc7600000
	v_cmp_nlg_f32_e64 s13, 0x7f800000, |v14|
	s_wait_alu 0xf1ff
	s_delay_alu instid0(VALU_DEP_1) | instskip(NEXT) | instid1(VALU_DEP_1)
	v_cndmask_b32_e64 v14, v16, v14, s13
	v_cvt_pk_bf8_f32 v17, v14, v14
	flat_store_b8 v[12:13], v17 th:TH_STORE_NT
	v_add_co_u32 v12, s13, v12, v144
	s_wait_alu 0xf1ff
	v_add_co_ci_u32_e64 v13, null, 0, v13, s13
	s_wait_alu 0xfffe
	s_and_not1_b32 exec_lo, exec_lo, s14
	s_cbranch_execnz .LBB6_628
.LBB6_629:                              ;   in Loop: Header=BB6_495 Depth=2
	s_wait_alu 0xfffe
	s_or_b32 exec_lo, exec_lo, s39
.LBB6_630:                              ;   in Loop: Header=BB6_495 Depth=2
	v_cmp_lt_i32_e64 s13, 0, v42
	s_and_saveexec_b32 s14, s2
	s_cbranch_execz .LBB6_571
.LBB6_631:                              ;   in Loop: Header=BB6_495 Depth=2
	s_and_saveexec_b32 s15, s3
	s_wait_alu 0xfffe
	s_xor_b32 s15, exec_lo, s15
	s_cbranch_execz .LBB6_646
; %bb.632:                              ;   in Loop: Header=BB6_495 Depth=2
	s_and_saveexec_b32 s16, s6
	s_cbranch_execz .LBB6_645
; %bb.633:                              ;   in Loop: Header=BB6_495 Depth=2
	s_mov_b32 s18, exec_lo
	s_mov_b32 s17, exec_lo
	s_wait_alu 0xfffe
	v_mbcnt_lo_u32_b32 v8, s18, 0
	s_wait_storecnt 0x0
	s_wait_loadcnt_dscnt 0x0
	global_inv scope:SCOPE_DEV
	v_cmpx_eq_u32_e32 0, v8
	s_cbranch_execz .LBB6_635
; %bb.634:                              ;   in Loop: Header=BB6_495 Depth=2
	s_bcnt1_i32_b32 s18, s18
	s_wait_alu 0xfffe
	v_dual_mov_b32 v9, v2 :: v_dual_mov_b32 v8, s18
	s_wait_loadcnt 0x0
	ds_add_u64 v0, v[8:9]
	s_trap 2
.LBB6_635:                              ;   in Loop: Header=BB6_495 Depth=2
	s_or_b32 exec_lo, exec_lo, s17
	s_trap 2
	ds_load_b64 v[8:9], v0
	s_wait_dscnt 0x0
	global_inv scope:SCOPE_SE
	v_add_co_u32 v70, vcc_lo, v70, v135
	s_wait_alu 0xfffd
	v_add_co_ci_u32_e64 v71, null, 0, v71, vcc_lo
	s_mov_b32 s17, exec_lo
	v_cmpx_lt_u64_e64 v[8:9], v[70:71]
	s_cbranch_execz .LBB6_644
; %bb.636:                              ;   in Loop: Header=BB6_495 Depth=2
	s_mov_b32 s18, 0
	s_mov_b32 s21, 0
                                        ; implicit-def: $sgpr19
                                        ; implicit-def: $sgpr20
	s_branch .LBB6_638
.LBB6_637:                              ;   in Loop: Header=BB6_638 Depth=3
	s_wait_alu 0xfffe
	s_or_b32 exec_lo, exec_lo, s23
	s_delay_alu instid0(SALU_CYCLE_1)
	s_and_b32 s22, exec_lo, s24
	s_wait_alu 0xfffe
	s_or_b32 s18, s22, s18
	s_and_not1_b32 s19, s19, exec_lo
	s_and_b32 s22, s20, exec_lo
	s_wait_alu 0xfffe
	s_or_b32 s19, s19, s22
	s_and_not1_b32 exec_lo, exec_lo, s18
	s_cbranch_execz .LBB6_642
.LBB6_638:                              ;   Parent Loop BB6_47 Depth=1
                                        ;     Parent Loop BB6_495 Depth=2
                                        ; =>    This Inner Loop Header: Depth=3
	s_wait_alu 0xfffe
	s_add_co_i32 s21, s21, 1
	s_wait_alu 0xfffe
	s_cmp_lg_u32 s21, 0x2710
	s_cselect_b32 s22, -1, 0
	s_wait_alu 0xfffe
	s_and_b32 vcc_lo, exec_lo, s22
	s_wait_alu 0xfffe
	s_cbranch_vccz .LBB6_640
; %bb.639:                              ;   in Loop: Header=BB6_638 Depth=3
	s_mov_b32 s24, -1
	s_or_b32 s20, s20, exec_lo
	s_and_saveexec_b32 s23, s22
	s_cbranch_execz .LBB6_637
	s_branch .LBB6_641
.LBB6_640:                              ;   in Loop: Header=BB6_638 Depth=3
	s_trap 2
	ds_load_b64 v[8:9], v0
	s_and_not1_b32 s22, s22, exec_lo
	s_mov_b32 s21, 0
	s_wait_loadcnt_dscnt 0x0
	flat_load_b32 v8, v[8:9] scope:SCOPE_SYS
	s_wait_loadcnt_dscnt 0x0
	global_inv scope:SCOPE_SYS
	v_cmp_eq_u32_e32 vcc_lo, 0, v8
	s_and_b32 s23, vcc_lo, exec_lo
	s_wait_alu 0xfffe
	s_or_b32 s22, s22, s23
	s_mov_b32 s24, -1
	s_or_b32 s20, s20, exec_lo
	s_wait_alu 0xfffe
	s_and_saveexec_b32 s23, s22
	s_cbranch_execz .LBB6_637
.LBB6_641:                              ;   in Loop: Header=BB6_638 Depth=3
	s_sleep 1
	s_trap 2
	ds_load_b64 v[8:9], v0
	s_wait_dscnt 0x0
	global_inv scope:SCOPE_SE
	s_wait_alu 0xfffe
	s_and_not1_b32 s20, s20, exec_lo
	v_cmp_ge_u64_e32 vcc_lo, v[8:9], v[70:71]
	s_or_not1_b32 s24, vcc_lo, exec_lo
	s_branch .LBB6_637
.LBB6_642:                              ;   in Loop: Header=BB6_495 Depth=2
	s_or_b32 exec_lo, exec_lo, s18
	s_wait_alu 0xfffe
	s_and_saveexec_b32 s18, s19
	s_wait_alu 0xfffe
	s_xor_b32 s18, exec_lo, s18
	s_cbranch_execz .LBB6_644
; %bb.643:                              ;   in Loop: Header=BB6_495 Depth=2
	ds_store_b32 v0, v145
	s_trap 2
.LBB6_644:                              ;   in Loop: Header=BB6_495 Depth=2
	s_wait_alu 0xfffe
	s_or_b32 exec_lo, exec_lo, s17
	;;#ASMSTART
	s_wakeup
	;;#ASMEND
.LBB6_645:                              ;   in Loop: Header=BB6_495 Depth=2
	s_wait_alu 0xfffe
	s_or_b32 exec_lo, exec_lo, s16
.LBB6_646:                              ;   in Loop: Header=BB6_495 Depth=2
	s_wait_alu 0xfffe
	s_and_not1_saveexec_b32 s15, s15
	s_cbranch_execz .LBB6_648
; %bb.647:                              ;   in Loop: Header=BB6_495 Depth=2
	s_wait_storecnt 0x0
	s_wait_loadcnt_dscnt 0x0
	global_inv scope:SCOPE_DEV
	s_barrier_signal -1
	s_barrier_wait -1
.LBB6_648:                              ;   in Loop: Header=BB6_495 Depth=2
	s_wait_alu 0xfffe
	s_or_b32 exec_lo, exec_lo, s15
	s_delay_alu instid0(SALU_CYCLE_1)
	s_or_b32 exec_lo, exec_lo, s14
                                        ; implicit-def: $vgpr8
	s_and_saveexec_b32 s14, s10
	s_wait_alu 0xfffe
	s_xor_b32 s14, exec_lo, s14
	s_cbranch_execnz .LBB6_572
.LBB6_649:                              ;   in Loop: Header=BB6_495 Depth=2
	s_wait_alu 0xfffe
	s_and_not1_saveexec_b32 s13, s14
	s_cbranch_execz .LBB6_668
.LBB6_650:                              ;   in Loop: Header=BB6_495 Depth=2
	s_and_saveexec_b32 s14, s3
	s_wait_alu 0xfffe
	s_xor_b32 s14, exec_lo, s14
	s_cbranch_execz .LBB6_665
; %bb.651:                              ;   in Loop: Header=BB6_495 Depth=2
	s_and_saveexec_b32 s15, s6
	s_cbranch_execz .LBB6_664
; %bb.652:                              ;   in Loop: Header=BB6_495 Depth=2
	s_mov_b32 s17, exec_lo
	s_mov_b32 s16, exec_lo
	s_wait_alu 0xfffe
	v_mbcnt_lo_u32_b32 v8, s17, 0
	;;#ASMSTART
	s_waitcnt lgkmcnt(0) vmcnt(0)
	;;#ASMEND
	s_delay_alu instid0(VALU_DEP_1)
	v_cmpx_eq_u32_e32 0, v8
	s_cbranch_execz .LBB6_654
; %bb.653:                              ;   in Loop: Header=BB6_495 Depth=2
	s_bcnt1_i32_b32 s17, s17
	s_wait_alu 0xfffe
	v_dual_mov_b32 v9, v2 :: v_dual_mov_b32 v8, s17
	s_wait_storecnt 0x0
	s_wait_loadcnt_dscnt 0x0
	ds_add_u64 v0, v[8:9]
	s_trap 2
.LBB6_654:                              ;   in Loop: Header=BB6_495 Depth=2
	s_or_b32 exec_lo, exec_lo, s16
	s_trap 2
	ds_load_b64 v[8:9], v0
	s_wait_dscnt 0x0
	global_inv scope:SCOPE_SE
	v_add_co_u32 v70, vcc_lo, v70, v135
	s_wait_alu 0xfffd
	v_add_co_ci_u32_e64 v71, null, 0, v71, vcc_lo
	s_mov_b32 s16, exec_lo
	v_cmpx_lt_u64_e64 v[8:9], v[70:71]
	s_cbranch_execz .LBB6_663
; %bb.655:                              ;   in Loop: Header=BB6_495 Depth=2
	s_mov_b32 s17, 0
	s_mov_b32 s20, 0
                                        ; implicit-def: $sgpr18
                                        ; implicit-def: $sgpr19
	s_branch .LBB6_657
.LBB6_656:                              ;   in Loop: Header=BB6_657 Depth=3
	s_wait_alu 0xfffe
	s_or_b32 exec_lo, exec_lo, s22
	s_delay_alu instid0(SALU_CYCLE_1)
	s_and_b32 s21, exec_lo, s23
	s_wait_alu 0xfffe
	s_or_b32 s17, s21, s17
	s_and_not1_b32 s18, s18, exec_lo
	s_and_b32 s21, s19, exec_lo
	s_wait_alu 0xfffe
	s_or_b32 s18, s18, s21
	s_and_not1_b32 exec_lo, exec_lo, s17
	s_cbranch_execz .LBB6_661
.LBB6_657:                              ;   Parent Loop BB6_47 Depth=1
                                        ;     Parent Loop BB6_495 Depth=2
                                        ; =>    This Inner Loop Header: Depth=3
	s_wait_alu 0xfffe
	s_add_co_i32 s20, s20, 1
	s_wait_alu 0xfffe
	s_cmp_lg_u32 s20, 0x2710
	s_cselect_b32 s21, -1, 0
	s_wait_alu 0xfffe
	s_and_b32 vcc_lo, exec_lo, s21
	s_wait_alu 0xfffe
	s_cbranch_vccz .LBB6_659
; %bb.658:                              ;   in Loop: Header=BB6_657 Depth=3
	s_mov_b32 s23, -1
	s_or_b32 s19, s19, exec_lo
	s_and_saveexec_b32 s22, s21
	s_cbranch_execz .LBB6_656
	s_branch .LBB6_660
.LBB6_659:                              ;   in Loop: Header=BB6_657 Depth=3
	s_trap 2
	ds_load_b64 v[8:9], v0
	s_and_not1_b32 s21, s21, exec_lo
	s_mov_b32 s20, 0
	s_wait_storecnt 0x0
	s_wait_loadcnt_dscnt 0x0
	flat_load_b32 v8, v[8:9] scope:SCOPE_SYS
	s_wait_loadcnt_dscnt 0x0
	global_inv scope:SCOPE_SYS
	v_cmp_eq_u32_e32 vcc_lo, 0, v8
	s_and_b32 s22, vcc_lo, exec_lo
	s_wait_alu 0xfffe
	s_or_b32 s21, s21, s22
	s_mov_b32 s23, -1
	s_or_b32 s19, s19, exec_lo
	s_wait_alu 0xfffe
	s_and_saveexec_b32 s22, s21
	s_cbranch_execz .LBB6_656
.LBB6_660:                              ;   in Loop: Header=BB6_657 Depth=3
	s_sleep 1
	s_trap 2
	ds_load_b64 v[8:9], v0
	s_wait_dscnt 0x0
	global_inv scope:SCOPE_SE
	s_wait_alu 0xfffe
	s_and_not1_b32 s19, s19, exec_lo
	v_cmp_ge_u64_e32 vcc_lo, v[8:9], v[70:71]
	s_or_not1_b32 s23, vcc_lo, exec_lo
	s_branch .LBB6_656
.LBB6_661:                              ;   in Loop: Header=BB6_495 Depth=2
	s_or_b32 exec_lo, exec_lo, s17
	s_wait_alu 0xfffe
	s_and_saveexec_b32 s17, s18
	s_wait_alu 0xfffe
	s_xor_b32 s17, exec_lo, s17
	s_cbranch_execz .LBB6_663
; %bb.662:                              ;   in Loop: Header=BB6_495 Depth=2
	ds_store_b32 v0, v145
	s_trap 2
.LBB6_663:                              ;   in Loop: Header=BB6_495 Depth=2
	s_wait_alu 0xfffe
	s_or_b32 exec_lo, exec_lo, s16
	;;#ASMSTART
	s_wakeup
	;;#ASMEND
.LBB6_664:                              ;   in Loop: Header=BB6_495 Depth=2
	s_wait_alu 0xfffe
	s_or_b32 exec_lo, exec_lo, s15
.LBB6_665:                              ;   in Loop: Header=BB6_495 Depth=2
	s_wait_alu 0xfffe
	s_and_not1_saveexec_b32 s14, s14
	s_cbranch_execz .LBB6_667
; %bb.666:                              ;   in Loop: Header=BB6_495 Depth=2
	;;#ASMSTART
	s_waitcnt lgkmcnt(0) vmcnt(0)
	;;#ASMEND
	s_barrier_signal -1
	s_barrier_wait -1
.LBB6_667:                              ;   in Loop: Header=BB6_495 Depth=2
	s_wait_alu 0xfffe
	s_or_b32 exec_lo, exec_lo, s14
	v_and_b32_e32 v8, 16, v30
.LBB6_668:                              ;   in Loop: Header=BB6_495 Depth=2
	s_wait_alu 0xfffe
	s_or_b32 exec_lo, exec_lo, s13
	s_delay_alu instid0(VALU_DEP_1)
	v_cmp_ne_u32_e32 vcc_lo, 0, v8
	s_xor_b32 s13, s4, -1
	s_wait_alu 0xfffe
	s_and_b32 s14, vcc_lo, s13
	s_wait_alu 0xfffe
	s_and_saveexec_b32 s13, s14
	s_cbranch_execz .LBB6_670
; %bb.669:                              ;   in Loop: Header=BB6_495 Depth=2
	global_wb scope:SCOPE_SYS
	s_wait_storecnt 0x0
	s_wait_loadcnt_dscnt 0x0
	flat_store_b32 v[68:69], v145 scope:SCOPE_SYS
.LBB6_670:                              ;   in Loop: Header=BB6_495 Depth=2
	s_wait_alu 0xfffe
	s_or_b32 exec_lo, exec_lo, s13
	v_and_b32_e32 v8, 48, v30
	s_mov_b32 s13, exec_lo
	s_delay_alu instid0(VALU_DEP_1)
	v_cmpx_ne_u32_e32 0, v8
	s_cbranch_execz .LBB6_494
; %bb.671:                              ;   in Loop: Header=BB6_495 Depth=2
	v_add_co_u32 v96, vcc_lo, v96, 2
	s_wait_alu 0xfffd
	v_add_co_ci_u32_e64 v97, null, 0, v97, vcc_lo
	global_wb scope:SCOPE_SYS
	s_wait_storecnt 0x0
	s_wait_loadcnt_dscnt 0x0
	flat_store_b64 v[64:65], v[96:97] scope:SCOPE_SYS
	s_branch .LBB6_494
.LBB6_672:                              ;   in Loop: Header=BB6_47 Depth=1
	s_or_b32 exec_lo, exec_lo, s36
.LBB6_673:                              ;   in Loop: Header=BB6_47 Depth=1
	s_wait_alu 0xfffe
	s_or_b32 exec_lo, exec_lo, s77
	s_delay_alu instid0(SALU_CYCLE_1)
	s_mov_b32 s14, exec_lo
	v_cmpx_gt_i32_e32 2, v10
	s_cbranch_execz .LBB6_749
; %bb.674:                              ;   in Loop: Header=BB6_47 Depth=1
	v_cmp_eq_u32_e64 s16, 0, v10
	s_mov_b32 s15, 0
	s_branch .LBB6_676
.LBB6_675:                              ;   in Loop: Header=BB6_676 Depth=2
	s_wait_alu 0xfffe
	s_or_b32 exec_lo, exec_lo, s13
	v_add_nc_u32_e32 v103, v100, v103
	s_mov_b32 s16, 0
	s_and_not1_b32 exec_lo, exec_lo, s15
	s_cbranch_execz .LBB6_748
.LBB6_676:                              ;   Parent Loop BB6_47 Depth=1
                                        ; =>  This Loop Header: Depth=2
                                        ;       Child Loop BB6_682 Depth 3
                                        ;       Child Loop BB6_710 Depth 3
	;; [unrolled: 1-line block ×3, first 2 shown]
	s_delay_alu instid0(VALU_DEP_1) | instskip(SKIP_2) | instid1(VALU_DEP_2)
	v_sub_nc_u32_e32 v8, v3, v103
	v_and_b32_e32 v9, 12, v30
	s_mov_b32 s17, exec_lo
	v_min_i32_e32 v100, v100, v8
	s_delay_alu instid0(VALU_DEP_2)
	v_cmpx_ne_u32_e32 0, v9
	s_cbranch_execz .LBB6_702
; %bb.677:                              ;   in Loop: Header=BB6_676 Depth=2
	v_and_b32_e32 v16, 8, v30
	s_mov_b32 s18, exec_lo
	s_delay_alu instid0(VALU_DEP_1)
	v_add_co_u32 v10, vcc_lo, v80, v16
	s_wait_alu 0xfffd
	v_add_co_ci_u32_e64 v11, null, 0, v81, vcc_lo
	v_add_co_u32 v8, vcc_lo, v96, 2
	s_wait_alu 0xfffd
	v_add_co_ci_u32_e64 v9, null, 0, v97, vcc_lo
	s_delay_alu instid0(VALU_DEP_1)
	v_cmpx_lt_u64_e64 v[10:11], v[8:9]
	s_cbranch_execz .LBB6_689
; %bb.678:                              ;   in Loop: Header=BB6_676 Depth=2
	v_and_b32_e32 v10, 64, v30
	s_mov_b32 s19, 0
	s_mov_b32 s23, 0
                                        ; implicit-def: $sgpr20
                                        ; implicit-def: $sgpr21
                                        ; implicit-def: $sgpr22
	s_delay_alu instid0(VALU_DEP_1)
	v_cmp_eq_u32_e32 vcc_lo, 0, v10
	s_branch .LBB6_682
.LBB6_679:                              ;   in Loop: Header=BB6_682 Depth=3
	v_add_co_u32 v11, s13, v80, v16
	s_wait_alu 0xf1ff
	v_add_co_ci_u32_e64 v12, null, 0, v81, s13
	s_or_b32 s26, s26, exec_lo
	v_cmp_ge_u64_e64 s13, v[11:12], v[8:9]
	s_or_not1_b32 s25, s13, exec_lo
.LBB6_680:                              ;   in Loop: Header=BB6_682 Depth=3
	s_wait_alu 0xfffe
	s_or_b32 exec_lo, exec_lo, s28
	s_delay_alu instid0(SALU_CYCLE_1)
	s_and_not1_b32 s13, s22, exec_lo
	s_and_b32 s22, s26, exec_lo
	s_and_not1_b32 s21, s21, exec_lo
	s_and_b32 s25, s25, exec_lo
	s_wait_alu 0xfffe
	s_or_b32 s22, s13, s22
	s_or_b32 s21, s21, s25
.LBB6_681:                              ;   in Loop: Header=BB6_682 Depth=3
	s_wait_alu 0xfffe
	s_or_b32 exec_lo, exec_lo, s24
	s_delay_alu instid0(SALU_CYCLE_1)
	s_and_b32 s13, exec_lo, s21
	s_wait_alu 0xfffe
	s_or_b32 s19, s13, s19
	s_and_not1_b32 s13, s20, exec_lo
	s_and_b32 s20, s22, exec_lo
	s_wait_alu 0xfffe
	s_or_b32 s20, s13, s20
	s_and_not1_b32 exec_lo, exec_lo, s19
	s_cbranch_execz .LBB6_686
.LBB6_682:                              ;   Parent Loop BB6_47 Depth=1
                                        ;     Parent Loop BB6_676 Depth=2
                                        ; =>    This Inner Loop Header: Depth=3
	s_sleep 1
	flat_load_b64 v[80:81], v[64:65] scope:SCOPE_SYS
	s_wait_loadcnt_dscnt 0x0
	global_inv scope:SCOPE_SYS
	s_or_b32 s22, s22, exec_lo
	s_or_b32 s21, s21, exec_lo
                                        ; implicit-def: $vgpr10
	s_and_saveexec_b32 s24, vcc_lo
	s_cbranch_execz .LBB6_681
; %bb.683:                              ;   in Loop: Header=BB6_682 Depth=3
	s_wait_alu 0xfffe
	s_cmp_lt_i32 s23, 0x270f
	s_mov_b32 s25, -1
	s_cselect_b32 s27, -1, 0
	s_cmp_gt_i32 s23, 0x270e
	s_cbranch_scc0 .LBB6_685
; %bb.684:                              ;   in Loop: Header=BB6_682 Depth=3
	s_trap 2
	ds_load_b64 v[10:11], v0
	s_wait_alu 0xfffe
	s_and_not1_b32 s23, s27, exec_lo
	s_mov_b32 s26, 0
	s_wait_storecnt 0x0
	s_wait_loadcnt_dscnt 0x0
	flat_load_b32 v10, v[10:11] scope:SCOPE_SYS
	s_wait_loadcnt_dscnt 0x0
	global_inv scope:SCOPE_SYS
	v_cmp_eq_u32_e64 s13, 0, v10
	s_and_b32 s13, s13, exec_lo
	s_wait_alu 0xfffe
	s_or_b32 s27, s23, s13
	s_mov_b32 s23, 0
	s_wait_alu 0xfffe
	s_and_saveexec_b32 s28, s27
	s_cbranch_execz .LBB6_680
	s_branch .LBB6_679
.LBB6_685:                              ;   in Loop: Header=BB6_682 Depth=3
	s_add_co_i32 s23, s23, 1
	s_mov_b32 s26, -1
                                        ; implicit-def: $vgpr10
	s_wait_alu 0xfffe
	s_and_saveexec_b32 s28, s27
	s_cbranch_execz .LBB6_680
	s_branch .LBB6_679
.LBB6_686:                              ;   in Loop: Header=BB6_676 Depth=2
	s_or_b32 exec_lo, exec_lo, s19
	s_wait_alu 0xfffe
	s_xor_b32 s13, s20, -1
	s_wait_alu 0xfffe
	s_and_saveexec_b32 s19, s13
	s_wait_alu 0xfffe
	s_xor_b32 s13, exec_lo, s19
	s_cbranch_execz .LBB6_688
; %bb.687:                              ;   in Loop: Header=BB6_676 Depth=2
	v_or_b32_e32 v30, 64, v30
	s_wait_loadcnt 0x0
	s_wait_storecnt 0x0
	ds_store_b32 v0, v10
	s_trap 2
.LBB6_688:                              ;   in Loop: Header=BB6_676 Depth=2
	s_wait_alu 0xfffe
	s_or_b32 exec_lo, exec_lo, s13
.LBB6_689:                              ;   in Loop: Header=BB6_676 Depth=2
	s_wait_alu 0xfffe
	s_or_b32 exec_lo, exec_lo, s18
	v_and_b32_e32 v10, 0x108, v30
	;;#ASMSTART
	s_wakeup
	;;#ASMEND
	s_delay_alu instid0(VALU_DEP_1)
	v_cmp_ne_u32_e32 vcc_lo, 0x108, v10
                                        ; implicit-def: $vgpr10_vgpr11
	s_and_saveexec_b32 s13, vcc_lo
	s_wait_alu 0xfffe
	s_xor_b32 s13, exec_lo, s13
; %bb.690:                              ;   in Loop: Header=BB6_676 Depth=2
	v_dual_mov_b32 v11, v2 :: v_dual_and_b32 v10, 7, v96
                                        ; implicit-def: $vgpr96_vgpr97
; %bb.691:                              ;   in Loop: Header=BB6_676 Depth=2
	s_wait_alu 0xfffe
	s_and_not1_saveexec_b32 s13, s13
	s_cbranch_execz .LBB6_693
; %bb.692:                              ;   in Loop: Header=BB6_676 Depth=2
	v_dual_mov_b32 v11, v2 :: v_dual_and_b32 v10, 7, v96
	v_ashrrev_i32_e32 v101, 31, v100
	s_delay_alu instid0(VALU_DEP_2)
	v_mad_co_u64_u32 v[12:13], null, v10, 24, v[6:7]
	flat_store_b64 v[12:13], v[100:101] offset:8
.LBB6_693:                              ;   in Loop: Header=BB6_676 Depth=2
	s_wait_alu 0xfffe
	s_or_b32 exec_lo, exec_lo, s13
	v_and_b32_e32 v12, 0x100, v30
	s_mov_b32 s13, -1
	s_delay_alu instid0(VALU_DEP_1)
	v_cmp_ne_u32_e32 vcc_lo, 0, v12
                                        ; implicit-def: $vgpr12_vgpr13
	s_and_saveexec_b32 s18, vcc_lo
	s_cbranch_execz .LBB6_697
; %bb.694:                              ;   in Loop: Header=BB6_676 Depth=2
	v_mad_co_u64_u32 v[14:15], null, v10, 24, v[6:7]
	s_delay_alu instid0(VALU_DEP_1) | instskip(NEXT) | instid1(VALU_DEP_1)
	v_mov_b32_e32 v12, v15
	v_mad_co_u64_u32 v[12:13], null, v11, 24, v[12:13]
	s_delay_alu instid0(VALU_DEP_1)
	v_mov_b32_e32 v15, v12
	flat_load_b32 v12, v[14:15]
	s_wait_loadcnt_dscnt 0x0
	v_cmp_eq_u32_e64 s13, 1, v12
	v_cmp_ne_u32_e32 vcc_lo, 1, v12
                                        ; implicit-def: $vgpr12_vgpr13
	s_wait_alu 0xfffe
	s_and_saveexec_b32 s19, s13
	s_cbranch_execz .LBB6_696
; %bb.695:                              ;   in Loop: Header=BB6_676 Depth=2
	flat_load_b32 v12, v[14:15] offset:4 scope:SCOPE_SYS
	s_wait_loadcnt_dscnt 0x0
	v_ashrrev_i32_e32 v13, 31, v12
.LBB6_696:                              ;   in Loop: Header=BB6_676 Depth=2
	s_wait_alu 0xfffe
	s_or_b32 exec_lo, exec_lo, s19
	s_delay_alu instid0(SALU_CYCLE_1)
	s_or_not1_b32 s13, vcc_lo, exec_lo
.LBB6_697:                              ;   in Loop: Header=BB6_676 Depth=2
	s_wait_alu 0xfffe
	s_or_b32 exec_lo, exec_lo, s18
	s_and_saveexec_b32 s18, s13
; %bb.698:                              ;   in Loop: Header=BB6_676 Depth=2
	v_mul_lo_u32 v11, v11, v132
	v_mul_lo_u32 v14, v10, v134
	v_mad_co_u64_u32 v[12:13], null, v10, v132, 0
	s_delay_alu instid0(VALU_DEP_1)
	v_add3_u32 v13, v13, v14, v11
; %bb.699:                              ;   in Loop: Header=BB6_676 Depth=2
	s_wait_alu 0xfffe
	s_or_b32 exec_lo, exec_lo, s18
	v_cmp_eq_u32_e32 vcc_lo, 0, v16
	v_and_b32_e32 v15, 0x2000, v30
	s_mov_b32 s13, exec_lo
	s_wait_alu 0xfffd
	v_cndmask_b32_e32 v14, 0xd0, v146, vcc_lo
	v_add_co_u32 v10, vcc_lo, v66, v12
	s_wait_alu 0xfffd
	v_add_co_ci_u32_e64 v11, null, v67, v13, vcc_lo
	s_delay_alu instid0(VALU_DEP_3)
	v_add_nc_u32_e32 v12, v0, v14
	ds_store_b64 v12, v[10:11] offset:584
	v_cmpx_ne_u32_e32 0, v15
	s_cbranch_execz .LBB6_701
; %bb.700:                              ;   in Loop: Header=BB6_676 Depth=2
	ds_load_b64 v[10:11], v0 offset:872
	s_wait_dscnt 0x0
	v_add_co_u32 v10, vcc_lo, v10, 1
	s_wait_alu 0xfffd
	v_add_co_ci_u32_e64 v11, null, 0, v11, vcc_lo
	ds_store_b64 v0, v[10:11] offset:872
.LBB6_701:                              ;   in Loop: Header=BB6_676 Depth=2
	s_wait_alu 0xfffe
	s_or_b32 exec_lo, exec_lo, s13
	v_dual_mov_b32 v97, v9 :: v_dual_mov_b32 v96, v8
.LBB6_702:                              ;   in Loop: Header=BB6_676 Depth=2
	s_wait_alu 0xfffe
	s_or_b32 exec_lo, exec_lo, s17
	s_xor_b32 s13, s16, -1
	s_wait_alu 0xfffe
	s_and_b32 s13, exec_lo, s13
	s_wait_alu 0xfffe
	s_or_b32 s15, s13, s15
	s_and_saveexec_b32 s13, s2
	s_cbranch_execz .LBB6_721
; %bb.703:                              ;   in Loop: Header=BB6_676 Depth=2
	s_and_saveexec_b32 s16, s3
	s_wait_alu 0xfffe
	s_xor_b32 s16, exec_lo, s16
	s_cbranch_execz .LBB6_718
; %bb.704:                              ;   in Loop: Header=BB6_676 Depth=2
	s_and_saveexec_b32 s17, s6
	s_cbranch_execz .LBB6_717
; %bb.705:                              ;   in Loop: Header=BB6_676 Depth=2
	s_mov_b32 s19, exec_lo
	s_mov_b32 s18, exec_lo
	s_wait_alu 0xfffe
	v_mbcnt_lo_u32_b32 v8, s19, 0
	s_wait_storecnt 0x0
	s_wait_loadcnt_dscnt 0x0
	global_inv scope:SCOPE_DEV
	v_cmpx_eq_u32_e32 0, v8
	s_cbranch_execz .LBB6_707
; %bb.706:                              ;   in Loop: Header=BB6_676 Depth=2
	s_bcnt1_i32_b32 s19, s19
	s_wait_alu 0xfffe
	v_dual_mov_b32 v9, v2 :: v_dual_mov_b32 v8, s19
	s_wait_loadcnt 0x0
	ds_add_u64 v0, v[8:9]
	s_trap 2
.LBB6_707:                              ;   in Loop: Header=BB6_676 Depth=2
	s_or_b32 exec_lo, exec_lo, s18
	s_trap 2
	ds_load_b64 v[8:9], v0
	s_wait_dscnt 0x0
	global_inv scope:SCOPE_SE
	v_add_co_u32 v70, vcc_lo, v70, v135
	s_wait_alu 0xfffd
	v_add_co_ci_u32_e64 v71, null, 0, v71, vcc_lo
	s_mov_b32 s18, exec_lo
	v_cmpx_lt_u64_e64 v[8:9], v[70:71]
	s_cbranch_execz .LBB6_716
; %bb.708:                              ;   in Loop: Header=BB6_676 Depth=2
	s_mov_b32 s19, 0
	s_mov_b32 s22, 0
                                        ; implicit-def: $sgpr20
                                        ; implicit-def: $sgpr21
	s_branch .LBB6_710
.LBB6_709:                              ;   in Loop: Header=BB6_710 Depth=3
	s_wait_alu 0xfffe
	s_or_b32 exec_lo, exec_lo, s24
	s_delay_alu instid0(SALU_CYCLE_1)
	s_and_b32 s23, exec_lo, s25
	s_wait_alu 0xfffe
	s_or_b32 s19, s23, s19
	s_and_not1_b32 s20, s20, exec_lo
	s_and_b32 s23, s21, exec_lo
	s_wait_alu 0xfffe
	s_or_b32 s20, s20, s23
	s_and_not1_b32 exec_lo, exec_lo, s19
	s_cbranch_execz .LBB6_714
.LBB6_710:                              ;   Parent Loop BB6_47 Depth=1
                                        ;     Parent Loop BB6_676 Depth=2
                                        ; =>    This Inner Loop Header: Depth=3
	s_wait_alu 0xfffe
	s_add_co_i32 s22, s22, 1
	s_wait_alu 0xfffe
	s_cmp_lg_u32 s22, 0x2710
	s_cselect_b32 s23, -1, 0
	s_wait_alu 0xfffe
	s_and_b32 vcc_lo, exec_lo, s23
	s_wait_alu 0xfffe
	s_cbranch_vccz .LBB6_712
; %bb.711:                              ;   in Loop: Header=BB6_710 Depth=3
	s_mov_b32 s25, -1
	s_or_b32 s21, s21, exec_lo
	s_and_saveexec_b32 s24, s23
	s_cbranch_execz .LBB6_709
	s_branch .LBB6_713
.LBB6_712:                              ;   in Loop: Header=BB6_710 Depth=3
	s_trap 2
	ds_load_b64 v[8:9], v0
	s_and_not1_b32 s23, s23, exec_lo
	s_mov_b32 s22, 0
	s_wait_loadcnt_dscnt 0x0
	flat_load_b32 v8, v[8:9] scope:SCOPE_SYS
	s_wait_loadcnt_dscnt 0x0
	global_inv scope:SCOPE_SYS
	v_cmp_eq_u32_e32 vcc_lo, 0, v8
	s_and_b32 s24, vcc_lo, exec_lo
	s_wait_alu 0xfffe
	s_or_b32 s23, s23, s24
	s_mov_b32 s25, -1
	s_or_b32 s21, s21, exec_lo
	s_wait_alu 0xfffe
	s_and_saveexec_b32 s24, s23
	s_cbranch_execz .LBB6_709
.LBB6_713:                              ;   in Loop: Header=BB6_710 Depth=3
	s_sleep 1
	s_trap 2
	ds_load_b64 v[8:9], v0
	s_wait_dscnt 0x0
	global_inv scope:SCOPE_SE
	s_wait_alu 0xfffe
	s_and_not1_b32 s21, s21, exec_lo
	v_cmp_ge_u64_e32 vcc_lo, v[8:9], v[70:71]
	s_or_not1_b32 s25, vcc_lo, exec_lo
	s_branch .LBB6_709
.LBB6_714:                              ;   in Loop: Header=BB6_676 Depth=2
	s_or_b32 exec_lo, exec_lo, s19
	s_wait_alu 0xfffe
	s_and_saveexec_b32 s19, s20
	s_wait_alu 0xfffe
	s_xor_b32 s19, exec_lo, s19
	s_cbranch_execz .LBB6_716
; %bb.715:                              ;   in Loop: Header=BB6_676 Depth=2
	ds_store_b32 v0, v145
	s_trap 2
.LBB6_716:                              ;   in Loop: Header=BB6_676 Depth=2
	s_wait_alu 0xfffe
	s_or_b32 exec_lo, exec_lo, s18
	;;#ASMSTART
	s_wakeup
	;;#ASMEND
.LBB6_717:                              ;   in Loop: Header=BB6_676 Depth=2
	s_wait_alu 0xfffe
	s_or_b32 exec_lo, exec_lo, s17
.LBB6_718:                              ;   in Loop: Header=BB6_676 Depth=2
	s_wait_alu 0xfffe
	s_and_not1_saveexec_b32 s16, s16
	s_cbranch_execz .LBB6_720
; %bb.719:                              ;   in Loop: Header=BB6_676 Depth=2
	s_wait_storecnt 0x0
	s_wait_loadcnt_dscnt 0x0
	global_inv scope:SCOPE_DEV
	s_barrier_signal -1
	s_barrier_wait -1
.LBB6_720:                              ;   in Loop: Header=BB6_676 Depth=2
	s_wait_alu 0xfffe
	s_or_b32 exec_lo, exec_lo, s16
.LBB6_721:                              ;   in Loop: Header=BB6_676 Depth=2
	s_wait_alu 0xfffe
	s_or_b32 exec_lo, exec_lo, s13
                                        ; implicit-def: $vgpr8
	s_and_saveexec_b32 s13, s10
	s_wait_alu 0xfffe
	s_xor_b32 s16, exec_lo, s13
	s_cbranch_execz .LBB6_725
; %bb.722:                              ;   in Loop: Header=BB6_676 Depth=2
	s_trap 2
	ds_load_b32 v8, v0
	v_cmp_lt_i32_e32 vcc_lo, 0, v100
	s_wait_dscnt 0x0
	v_readfirstlane_b32 s13, v8
	v_and_b32_e32 v8, 16, v30
	s_cmp_eq_u32 s13, 0
	s_delay_alu instid0(VALU_DEP_1)
	v_cmp_ne_u32_e64 s13, 0, v8
	s_cselect_b32 s17, -1, 0
	v_and_b32_e32 v8, 16, v30
	s_wait_alu 0xfffe
	s_and_b32 s17, vcc_lo, s17
	s_wait_alu 0xfffe
	s_and_b32 s17, s13, s17
	s_wait_alu 0xfffe
	s_and_saveexec_b32 s13, s17
	s_cbranch_execz .LBB6_724
; %bb.723:                              ;   in Loop: Header=BB6_676 Depth=2
	v_mov_b32_e32 v8, 1
	global_wb scope:SCOPE_SYS
	s_wait_loadcnt 0x0
	s_wait_storecnt 0x0
	global_inv scope:SCOPE_SYS
.LBB6_724:                              ;   in Loop: Header=BB6_676 Depth=2
	s_wait_alu 0xfffe
	s_or_b32 exec_lo, exec_lo, s13
	s_and_not1_saveexec_b32 s13, s16
	s_cbranch_execz .LBB6_744
	s_branch .LBB6_726
.LBB6_725:                              ;   in Loop: Header=BB6_676 Depth=2
	s_wait_alu 0xfffe
	s_and_not1_saveexec_b32 s13, s16
	s_cbranch_execz .LBB6_744
.LBB6_726:                              ;   in Loop: Header=BB6_676 Depth=2
	s_and_saveexec_b32 s16, s3
	s_wait_alu 0xfffe
	s_xor_b32 s16, exec_lo, s16
	s_cbranch_execz .LBB6_741
; %bb.727:                              ;   in Loop: Header=BB6_676 Depth=2
	s_and_saveexec_b32 s17, s6
	s_cbranch_execz .LBB6_740
; %bb.728:                              ;   in Loop: Header=BB6_676 Depth=2
	s_mov_b32 s19, exec_lo
	s_mov_b32 s18, exec_lo
	s_wait_alu 0xfffe
	v_mbcnt_lo_u32_b32 v8, s19, 0
	;;#ASMSTART
	s_waitcnt lgkmcnt(0) vmcnt(0)
	;;#ASMEND
	s_delay_alu instid0(VALU_DEP_1)
	v_cmpx_eq_u32_e32 0, v8
	s_cbranch_execz .LBB6_730
; %bb.729:                              ;   in Loop: Header=BB6_676 Depth=2
	s_bcnt1_i32_b32 s19, s19
	s_wait_alu 0xfffe
	v_dual_mov_b32 v9, v2 :: v_dual_mov_b32 v8, s19
	s_wait_storecnt 0x0
	s_wait_loadcnt_dscnt 0x0
	ds_add_u64 v0, v[8:9]
	s_trap 2
.LBB6_730:                              ;   in Loop: Header=BB6_676 Depth=2
	s_or_b32 exec_lo, exec_lo, s18
	s_trap 2
	ds_load_b64 v[8:9], v0
	s_wait_dscnt 0x0
	global_inv scope:SCOPE_SE
	v_add_co_u32 v70, vcc_lo, v70, v135
	s_wait_alu 0xfffd
	v_add_co_ci_u32_e64 v71, null, 0, v71, vcc_lo
	s_mov_b32 s18, exec_lo
	v_cmpx_lt_u64_e64 v[8:9], v[70:71]
	s_cbranch_execz .LBB6_739
; %bb.731:                              ;   in Loop: Header=BB6_676 Depth=2
	s_mov_b32 s19, 0
	s_mov_b32 s22, 0
                                        ; implicit-def: $sgpr20
                                        ; implicit-def: $sgpr21
	s_branch .LBB6_733
.LBB6_732:                              ;   in Loop: Header=BB6_733 Depth=3
	s_wait_alu 0xfffe
	s_or_b32 exec_lo, exec_lo, s24
	s_delay_alu instid0(SALU_CYCLE_1)
	s_and_b32 s23, exec_lo, s25
	s_wait_alu 0xfffe
	s_or_b32 s19, s23, s19
	s_and_not1_b32 s20, s20, exec_lo
	s_and_b32 s23, s21, exec_lo
	s_wait_alu 0xfffe
	s_or_b32 s20, s20, s23
	s_and_not1_b32 exec_lo, exec_lo, s19
	s_cbranch_execz .LBB6_737
.LBB6_733:                              ;   Parent Loop BB6_47 Depth=1
                                        ;     Parent Loop BB6_676 Depth=2
                                        ; =>    This Inner Loop Header: Depth=3
	s_wait_alu 0xfffe
	s_add_co_i32 s22, s22, 1
	s_wait_alu 0xfffe
	s_cmp_lg_u32 s22, 0x2710
	s_cselect_b32 s23, -1, 0
	s_wait_alu 0xfffe
	s_and_b32 vcc_lo, exec_lo, s23
	s_wait_alu 0xfffe
	s_cbranch_vccz .LBB6_735
; %bb.734:                              ;   in Loop: Header=BB6_733 Depth=3
	s_mov_b32 s25, -1
	s_or_b32 s21, s21, exec_lo
	s_and_saveexec_b32 s24, s23
	s_cbranch_execz .LBB6_732
	s_branch .LBB6_736
.LBB6_735:                              ;   in Loop: Header=BB6_733 Depth=3
	s_trap 2
	ds_load_b64 v[8:9], v0
	s_and_not1_b32 s23, s23, exec_lo
	s_mov_b32 s22, 0
	s_wait_storecnt 0x0
	s_wait_loadcnt_dscnt 0x0
	flat_load_b32 v8, v[8:9] scope:SCOPE_SYS
	s_wait_loadcnt_dscnt 0x0
	global_inv scope:SCOPE_SYS
	v_cmp_eq_u32_e32 vcc_lo, 0, v8
	s_and_b32 s24, vcc_lo, exec_lo
	s_wait_alu 0xfffe
	s_or_b32 s23, s23, s24
	s_mov_b32 s25, -1
	s_or_b32 s21, s21, exec_lo
	s_wait_alu 0xfffe
	s_and_saveexec_b32 s24, s23
	s_cbranch_execz .LBB6_732
.LBB6_736:                              ;   in Loop: Header=BB6_733 Depth=3
	s_sleep 1
	s_trap 2
	ds_load_b64 v[8:9], v0
	s_wait_dscnt 0x0
	global_inv scope:SCOPE_SE
	s_wait_alu 0xfffe
	s_and_not1_b32 s21, s21, exec_lo
	v_cmp_ge_u64_e32 vcc_lo, v[8:9], v[70:71]
	s_or_not1_b32 s25, vcc_lo, exec_lo
	s_branch .LBB6_732
.LBB6_737:                              ;   in Loop: Header=BB6_676 Depth=2
	s_or_b32 exec_lo, exec_lo, s19
	s_wait_alu 0xfffe
	s_and_saveexec_b32 s19, s20
	s_wait_alu 0xfffe
	s_xor_b32 s19, exec_lo, s19
	s_cbranch_execz .LBB6_739
; %bb.738:                              ;   in Loop: Header=BB6_676 Depth=2
	ds_store_b32 v0, v145
	s_trap 2
.LBB6_739:                              ;   in Loop: Header=BB6_676 Depth=2
	s_wait_alu 0xfffe
	s_or_b32 exec_lo, exec_lo, s18
	;;#ASMSTART
	s_wakeup
	;;#ASMEND
.LBB6_740:                              ;   in Loop: Header=BB6_676 Depth=2
	s_wait_alu 0xfffe
	s_or_b32 exec_lo, exec_lo, s17
.LBB6_741:                              ;   in Loop: Header=BB6_676 Depth=2
	s_wait_alu 0xfffe
	s_and_not1_saveexec_b32 s16, s16
	s_cbranch_execz .LBB6_743
; %bb.742:                              ;   in Loop: Header=BB6_676 Depth=2
	;;#ASMSTART
	s_waitcnt lgkmcnt(0) vmcnt(0)
	;;#ASMEND
	s_barrier_signal -1
	s_barrier_wait -1
.LBB6_743:                              ;   in Loop: Header=BB6_676 Depth=2
	s_wait_alu 0xfffe
	s_or_b32 exec_lo, exec_lo, s16
	v_and_b32_e32 v8, 16, v30
.LBB6_744:                              ;   in Loop: Header=BB6_676 Depth=2
	s_wait_alu 0xfffe
	s_or_b32 exec_lo, exec_lo, s13
	s_delay_alu instid0(VALU_DEP_1)
	v_cmp_ne_u32_e32 vcc_lo, 0, v8
	s_xor_b32 s13, s4, -1
	s_wait_alu 0xfffe
	s_and_b32 s16, vcc_lo, s13
	s_wait_alu 0xfffe
	s_and_saveexec_b32 s13, s16
	s_cbranch_execz .LBB6_746
; %bb.745:                              ;   in Loop: Header=BB6_676 Depth=2
	global_wb scope:SCOPE_SYS
	s_wait_storecnt 0x0
	s_wait_loadcnt_dscnt 0x0
	flat_store_b32 v[68:69], v145 scope:SCOPE_SYS
.LBB6_746:                              ;   in Loop: Header=BB6_676 Depth=2
	s_wait_alu 0xfffe
	s_or_b32 exec_lo, exec_lo, s13
	v_and_b32_e32 v8, 48, v30
	s_mov_b32 s13, exec_lo
	s_delay_alu instid0(VALU_DEP_1)
	v_cmpx_ne_u32_e32 0, v8
	s_cbranch_execz .LBB6_675
; %bb.747:                              ;   in Loop: Header=BB6_676 Depth=2
	v_add_co_u32 v96, vcc_lo, v96, 2
	s_wait_alu 0xfffd
	v_add_co_ci_u32_e64 v97, null, 0, v97, vcc_lo
	global_wb scope:SCOPE_SYS
	s_wait_storecnt 0x0
	s_wait_loadcnt_dscnt 0x0
	flat_store_b64 v[64:65], v[96:97] scope:SCOPE_SYS
	s_branch .LBB6_675
.LBB6_748:                              ;   in Loop: Header=BB6_47 Depth=1
	s_or_b32 exec_lo, exec_lo, s15
.LBB6_749:                              ;   in Loop: Header=BB6_47 Depth=1
	s_wait_alu 0xfffe
	s_or_b32 exec_lo, exec_lo, s14
	s_delay_alu instid0(SALU_CYCLE_1)
	s_and_not1_b32 vcc_lo, exec_lo, s93
	s_wait_alu 0xfffe
	s_cbranch_vccnz .LBB6_1010
; %bb.750:                              ;   in Loop: Header=BB6_47 Depth=1
	s_mov_b32 s18, 1
.LBB6_751:                              ;   Parent Loop BB6_47 Depth=1
                                        ; =>  This Loop Header: Depth=2
                                        ;       Child Loop BB6_754 Depth 3
                                        ;         Child Loop BB6_762 Depth 4
                                        ;         Child Loop BB6_790 Depth 4
	;; [unrolled: 1-line block ×5, first 2 shown]
                                        ;           Child Loop BB6_842 Depth 5
                                        ;         Child Loop BB6_851 Depth 4
                                        ;         Child Loop BB6_856 Depth 4
                                        ;           Child Loop BB6_857 Depth 5
                                        ;         Child Loop BB6_869 Depth 4
                                        ;         Child Loop BB6_874 Depth 4
	;; [unrolled: 1-line block ×6, first 2 shown]
                                        ;       Child Loop BB6_935 Depth 3
                                        ;         Child Loop BB6_941 Depth 4
                                        ;         Child Loop BB6_969 Depth 4
	;; [unrolled: 1-line block ×3, first 2 shown]
	s_wait_alu 0xfffe
	s_sub_co_i32 s13, s88, s18
	s_mov_b32 s20, 0
	s_wait_alu 0xfffe
	s_cmp_ge_i32 s13, s72
	v_mov_b32_e32 v21, 0
	s_cselect_b32 s14, s72, 0
	s_wait_alu 0xfffe
	s_sub_co_i32 s13, s13, s14
	s_wait_alu 0xfffe
	s_ashr_i32 s14, s13, 31
	v_mul_lo_u32 v3, v87, s13
	v_mad_co_u64_u32 v[8:9], null, v86, s13, 0
	s_wait_alu 0xfffe
	v_mul_lo_u32 v10, v86, s14
	s_delay_alu instid0(VALU_DEP_1) | instskip(NEXT) | instid1(VALU_DEP_3)
	v_add3_u32 v9, v9, v10, v3
	v_sub_co_u32 v10, vcc_lo, v98, v8
	s_wait_alu 0xfffd
	s_delay_alu instid0(VALU_DEP_2) | instskip(NEXT) | instid1(VALU_DEP_1)
	v_sub_co_ci_u32_e64 v11, null, v99, v9, vcc_lo
	v_cmp_lt_i64_e32 vcc_lo, v[86:87], v[10:11]
	s_wait_alu 0xfffd
	v_cndmask_b32_e32 v11, v10, v86, vcc_lo
	s_delay_alu instid0(VALU_DEP_1) | instskip(NEXT) | instid1(VALU_DEP_1)
	v_max_i32_e32 v3, 0, v11
	v_add_nc_u32_e32 v10, 31, v3
	v_cmp_lt_i32_e32 vcc_lo, 0, v11
	s_delay_alu instid0(VALU_DEP_2) | instskip(SKIP_1) | instid1(VALU_DEP_1)
	v_lshrrev_b32_e32 v10, 1, v10
	s_and_b32 s13, vcc_hi, vcc_lo
	v_and_b32_e32 v12, 0x3ffffff0, v10
	v_mov_b32_e32 v10, 0
	s_delay_alu instid0(VALU_DEP_2)
	v_max_i32_e32 v12, s92, v12
	s_wait_alu 0xfffe
	s_and_saveexec_b32 s19, s13
	s_cbranch_execz .LBB6_932
; %bb.752:                              ;   in Loop: Header=BB6_751 Depth=2
	v_add_co_u32 v22, vcc_lo, v8, v182
	s_wait_alu 0xfffd
	v_add_co_ci_u32_e64 v23, null, v9, v183, vcc_lo
	v_mov_b32_e32 v21, 0
	s_mov_b32 s22, 1
	s_mov_b32 s21, -1
	s_branch .LBB6_754
.LBB6_753:                              ;   in Loop: Header=BB6_754 Depth=3
	s_wait_alu 0xfffe
	s_or_b32 exec_lo, exec_lo, s13
	v_dual_mov_b32 v10, s22 :: v_dual_add_nc_u32 v21, v12, v21
	s_xor_b32 s13, s21, -1
	s_mov_b32 s21, 0
	s_mov_b32 s22, 2
	s_delay_alu instid0(VALU_DEP_1)
	v_cmp_ge_i32_e32 vcc_lo, v21, v3
	s_wait_alu 0xfffe
	s_or_b32 s13, s13, vcc_lo
	s_wait_alu 0xfffe
	s_and_b32 s13, exec_lo, s13
	s_wait_alu 0xfffe
	s_or_b32 s20, s13, s20
	s_wait_alu 0xfffe
	s_and_not1_b32 exec_lo, exec_lo, s20
	s_cbranch_execz .LBB6_931
.LBB6_754:                              ;   Parent Loop BB6_47 Depth=1
                                        ;     Parent Loop BB6_751 Depth=2
                                        ; =>    This Loop Header: Depth=3
                                        ;         Child Loop BB6_762 Depth 4
                                        ;         Child Loop BB6_790 Depth 4
	;; [unrolled: 1-line block ×5, first 2 shown]
                                        ;           Child Loop BB6_842 Depth 5
                                        ;         Child Loop BB6_851 Depth 4
                                        ;         Child Loop BB6_856 Depth 4
                                        ;           Child Loop BB6_857 Depth 5
                                        ;         Child Loop BB6_869 Depth 4
                                        ;         Child Loop BB6_874 Depth 4
	;; [unrolled: 1-line block ×6, first 2 shown]
	s_and_saveexec_b32 s14, s0
	s_cbranch_execz .LBB6_756
; %bb.755:                              ;   in Loop: Header=BB6_754 Depth=3
	s_trap 2
	ds_load_b128 v[8:11], v0
	v_ashrrev_i32_e32 v13, 31, v21
	s_wait_dscnt 0x0
	v_add_co_u32 v14, vcc_lo, v10, v22
	s_wait_alu 0xfffd
	v_add_co_ci_u32_e64 v15, null, v11, v23, vcc_lo
	v_add_co_u32 v8, vcc_lo, v8, v22
	s_wait_alu 0xfffd
	v_add_co_ci_u32_e64 v9, null, v9, v23, vcc_lo
	;; [unrolled: 3-line block ×3, first 2 shown]
	v_cmp_ne_u64_e32 vcc_lo, 0, v[10:11]
	v_add_co_u32 v8, s13, v8, v21
	s_wait_alu 0xf1ff
	v_add_co_ci_u32_e64 v9, null, v9, v13, s13
	s_wait_alu 0xfffd
	v_dual_cndmask_b32 v11, 0, v15 :: v_dual_cndmask_b32 v10, 0, v14
	ds_store_b64 v0, v[8:9]
	ds_store_b64 v0, v[10:11]
.LBB6_756:                              ;   in Loop: Header=BB6_754 Depth=3
	s_wait_alu 0xfffe
	s_or_b32 exec_lo, exec_lo, s14
	v_sub_nc_u32_e32 v8, v3, v21
	v_and_b32_e32 v9, 12, v30
	s_mov_b32 s14, exec_lo
	s_delay_alu instid0(VALU_DEP_2) | instskip(NEXT) | instid1(VALU_DEP_2)
	v_min_i32_e32 v12, v12, v8
	v_cmpx_ne_u32_e32 0, v9
	s_cbranch_execz .LBB6_782
; %bb.757:                              ;   in Loop: Header=BB6_754 Depth=3
	v_and_b32_e32 v17, 8, v30
	s_mov_b32 s15, exec_lo
	s_delay_alu instid0(VALU_DEP_1)
	v_add_co_u32 v10, vcc_lo, v80, v17
	s_wait_alu 0xfffd
	v_add_co_ci_u32_e64 v11, null, 0, v81, vcc_lo
	v_add_co_u32 v8, vcc_lo, v96, 2
	s_wait_alu 0xfffd
	v_add_co_ci_u32_e64 v9, null, 0, v97, vcc_lo
	s_delay_alu instid0(VALU_DEP_1)
	v_cmpx_lt_u64_e64 v[10:11], v[8:9]
	s_cbranch_execz .LBB6_769
; %bb.758:                              ;   in Loop: Header=BB6_754 Depth=3
	v_and_b32_e32 v10, 64, v30
	s_mov_b32 s16, 0
	s_mov_b32 s25, 0
                                        ; implicit-def: $sgpr17
                                        ; implicit-def: $sgpr23
                                        ; implicit-def: $sgpr24
	s_delay_alu instid0(VALU_DEP_1)
	v_cmp_eq_u32_e32 vcc_lo, 0, v10
	s_branch .LBB6_762
.LBB6_759:                              ;   in Loop: Header=BB6_762 Depth=4
	v_add_co_u32 v13, s13, v80, v17
	s_wait_alu 0xf1ff
	v_add_co_ci_u32_e64 v14, null, 0, v81, s13
	s_or_b32 s28, s28, exec_lo
	v_cmp_ge_u64_e64 s13, v[13:14], v[8:9]
	s_or_not1_b32 s27, s13, exec_lo
.LBB6_760:                              ;   in Loop: Header=BB6_762 Depth=4
	s_wait_alu 0xfffe
	s_or_b32 exec_lo, exec_lo, s40
	s_delay_alu instid0(SALU_CYCLE_1)
	s_and_not1_b32 s13, s24, exec_lo
	s_and_b32 s24, s28, exec_lo
	s_and_not1_b32 s23, s23, exec_lo
	s_and_b32 s27, s27, exec_lo
	s_wait_alu 0xfffe
	s_or_b32 s24, s13, s24
	s_or_b32 s23, s23, s27
.LBB6_761:                              ;   in Loop: Header=BB6_762 Depth=4
	s_wait_alu 0xfffe
	s_or_b32 exec_lo, exec_lo, s26
	s_delay_alu instid0(SALU_CYCLE_1)
	s_and_b32 s13, exec_lo, s23
	s_wait_alu 0xfffe
	s_or_b32 s16, s13, s16
	s_and_not1_b32 s13, s17, exec_lo
	s_and_b32 s17, s24, exec_lo
	s_wait_alu 0xfffe
	s_or_b32 s17, s13, s17
	s_and_not1_b32 exec_lo, exec_lo, s16
	s_cbranch_execz .LBB6_766
.LBB6_762:                              ;   Parent Loop BB6_47 Depth=1
                                        ;     Parent Loop BB6_751 Depth=2
                                        ;       Parent Loop BB6_754 Depth=3
                                        ; =>      This Inner Loop Header: Depth=4
	s_sleep 1
	flat_load_b64 v[80:81], v[64:65] scope:SCOPE_SYS
	s_wait_loadcnt_dscnt 0x0
	global_inv scope:SCOPE_SYS
	s_or_b32 s24, s24, exec_lo
	s_or_b32 s23, s23, exec_lo
                                        ; implicit-def: $vgpr10
	s_and_saveexec_b32 s26, vcc_lo
	s_cbranch_execz .LBB6_761
; %bb.763:                              ;   in Loop: Header=BB6_762 Depth=4
	s_wait_alu 0xfffe
	s_cmp_lt_i32 s25, 0x270f
	s_mov_b32 s27, -1
	s_cselect_b32 s29, -1, 0
	s_cmp_gt_i32 s25, 0x270e
	s_cbranch_scc0 .LBB6_765
; %bb.764:                              ;   in Loop: Header=BB6_762 Depth=4
	s_trap 2
	ds_load_b64 v[10:11], v0
	s_wait_alu 0xfffe
	s_and_not1_b32 s25, s29, exec_lo
	s_mov_b32 s28, 0
	s_wait_storecnt 0x0
	s_wait_loadcnt_dscnt 0x0
	flat_load_b32 v10, v[10:11] scope:SCOPE_SYS
	s_wait_loadcnt_dscnt 0x0
	global_inv scope:SCOPE_SYS
	v_cmp_eq_u32_e64 s13, 0, v10
	s_and_b32 s13, s13, exec_lo
	s_wait_alu 0xfffe
	s_or_b32 s29, s25, s13
	s_mov_b32 s25, 0
	s_wait_alu 0xfffe
	s_and_saveexec_b32 s40, s29
	s_cbranch_execz .LBB6_760
	s_branch .LBB6_759
.LBB6_765:                              ;   in Loop: Header=BB6_762 Depth=4
	s_add_co_i32 s25, s25, 1
	s_mov_b32 s28, -1
                                        ; implicit-def: $vgpr10
	s_wait_alu 0xfffe
	s_and_saveexec_b32 s40, s29
	s_cbranch_execz .LBB6_760
	s_branch .LBB6_759
.LBB6_766:                              ;   in Loop: Header=BB6_754 Depth=3
	s_or_b32 exec_lo, exec_lo, s16
	s_wait_alu 0xfffe
	s_xor_b32 s13, s17, -1
	s_wait_alu 0xfffe
	s_and_saveexec_b32 s16, s13
	s_wait_alu 0xfffe
	s_xor_b32 s13, exec_lo, s16
	s_cbranch_execz .LBB6_768
; %bb.767:                              ;   in Loop: Header=BB6_754 Depth=3
	v_or_b32_e32 v30, 64, v30
	s_wait_loadcnt 0x0
	s_wait_storecnt 0x0
	ds_store_b32 v0, v10
	s_trap 2
.LBB6_768:                              ;   in Loop: Header=BB6_754 Depth=3
	s_wait_alu 0xfffe
	s_or_b32 exec_lo, exec_lo, s13
.LBB6_769:                              ;   in Loop: Header=BB6_754 Depth=3
	s_wait_alu 0xfffe
	s_or_b32 exec_lo, exec_lo, s15
	v_and_b32_e32 v10, 0x108, v30
	;;#ASMSTART
	s_wakeup
	;;#ASMEND
	s_delay_alu instid0(VALU_DEP_1)
	v_cmp_ne_u32_e32 vcc_lo, 0x108, v10
                                        ; implicit-def: $vgpr10_vgpr11
	s_and_saveexec_b32 s13, vcc_lo
	s_wait_alu 0xfffe
	s_xor_b32 s13, exec_lo, s13
; %bb.770:                              ;   in Loop: Header=BB6_754 Depth=3
	v_dual_mov_b32 v11, v2 :: v_dual_and_b32 v10, 7, v96
                                        ; implicit-def: $vgpr96_vgpr97
; %bb.771:                              ;   in Loop: Header=BB6_754 Depth=3
	s_wait_alu 0xfffe
	s_and_not1_saveexec_b32 s13, s13
	s_cbranch_execz .LBB6_773
; %bb.772:                              ;   in Loop: Header=BB6_754 Depth=3
	v_dual_mov_b32 v11, v2 :: v_dual_and_b32 v10, 7, v96
	v_ashrrev_i32_e32 v13, 31, v12
	s_delay_alu instid0(VALU_DEP_2)
	v_mad_co_u64_u32 v[14:15], null, v10, 24, v[6:7]
	flat_store_b64 v[14:15], v[12:13] offset:8
.LBB6_773:                              ;   in Loop: Header=BB6_754 Depth=3
	s_wait_alu 0xfffe
	s_or_b32 exec_lo, exec_lo, s13
	v_and_b32_e32 v13, 0x100, v30
	s_mov_b32 s13, -1
	s_delay_alu instid0(VALU_DEP_1)
	v_cmp_ne_u32_e32 vcc_lo, 0, v13
                                        ; implicit-def: $vgpr13_vgpr14
	s_and_saveexec_b32 s15, vcc_lo
	s_cbranch_execz .LBB6_777
; %bb.774:                              ;   in Loop: Header=BB6_754 Depth=3
	v_mad_co_u64_u32 v[15:16], null, v10, 24, v[6:7]
	s_delay_alu instid0(VALU_DEP_1) | instskip(NEXT) | instid1(VALU_DEP_1)
	v_mov_b32_e32 v13, v16
	v_mad_co_u64_u32 v[13:14], null, v11, 24, v[13:14]
	s_delay_alu instid0(VALU_DEP_1)
	v_mov_b32_e32 v16, v13
	flat_load_b32 v13, v[15:16]
	s_wait_loadcnt_dscnt 0x0
	v_cmp_eq_u32_e64 s13, 1, v13
	v_cmp_ne_u32_e32 vcc_lo, 1, v13
                                        ; implicit-def: $vgpr13_vgpr14
	s_wait_alu 0xfffe
	s_and_saveexec_b32 s16, s13
	s_cbranch_execz .LBB6_776
; %bb.775:                              ;   in Loop: Header=BB6_754 Depth=3
	flat_load_b32 v13, v[15:16] offset:4 scope:SCOPE_SYS
	s_wait_loadcnt_dscnt 0x0
	v_ashrrev_i32_e32 v14, 31, v13
.LBB6_776:                              ;   in Loop: Header=BB6_754 Depth=3
	s_wait_alu 0xfffe
	s_or_b32 exec_lo, exec_lo, s16
	s_delay_alu instid0(SALU_CYCLE_1)
	s_or_not1_b32 s13, vcc_lo, exec_lo
.LBB6_777:                              ;   in Loop: Header=BB6_754 Depth=3
	s_wait_alu 0xfffe
	s_or_b32 exec_lo, exec_lo, s15
	s_and_saveexec_b32 s15, s13
; %bb.778:                              ;   in Loop: Header=BB6_754 Depth=3
	v_mul_lo_u32 v11, v11, v132
	v_mul_lo_u32 v15, v10, v134
	v_mad_co_u64_u32 v[13:14], null, v10, v132, 0
	s_delay_alu instid0(VALU_DEP_1)
	v_add3_u32 v14, v14, v15, v11
; %bb.779:                              ;   in Loop: Header=BB6_754 Depth=3
	s_wait_alu 0xfffe
	s_or_b32 exec_lo, exec_lo, s15
	v_cmp_eq_u32_e32 vcc_lo, 0, v17
	v_and_b32_e32 v16, 0x2000, v30
	s_mov_b32 s13, exec_lo
	s_wait_alu 0xfffd
	v_cndmask_b32_e32 v15, 0xd0, v147, vcc_lo
	v_add_co_u32 v10, vcc_lo, v66, v13
	s_wait_alu 0xfffd
	v_add_co_ci_u32_e64 v11, null, v67, v14, vcc_lo
	s_delay_alu instid0(VALU_DEP_3)
	v_add_nc_u32_e32 v13, v0, v15
	ds_store_b64 v13, v[10:11] offset:584
	v_cmpx_ne_u32_e32 0, v16
	s_cbranch_execz .LBB6_781
; %bb.780:                              ;   in Loop: Header=BB6_754 Depth=3
	ds_load_b64 v[10:11], v0 offset:872
	s_wait_dscnt 0x0
	v_add_co_u32 v10, vcc_lo, v10, 1
	s_wait_alu 0xfffd
	v_add_co_ci_u32_e64 v11, null, 0, v11, vcc_lo
	ds_store_b64 v0, v[10:11] offset:872
.LBB6_781:                              ;   in Loop: Header=BB6_754 Depth=3
	s_wait_alu 0xfffe
	s_or_b32 exec_lo, exec_lo, s13
	v_dual_mov_b32 v97, v9 :: v_dual_mov_b32 v96, v8
.LBB6_782:                              ;   in Loop: Header=BB6_754 Depth=3
	s_wait_alu 0xfffe
	s_or_b32 exec_lo, exec_lo, s14
	s_and_saveexec_b32 s13, s2
	s_cbranch_execz .LBB6_801
; %bb.783:                              ;   in Loop: Header=BB6_754 Depth=3
	s_and_saveexec_b32 s14, s3
	s_wait_alu 0xfffe
	s_xor_b32 s14, exec_lo, s14
	s_cbranch_execz .LBB6_798
; %bb.784:                              ;   in Loop: Header=BB6_754 Depth=3
	s_and_saveexec_b32 s15, s6
	s_cbranch_execz .LBB6_797
; %bb.785:                              ;   in Loop: Header=BB6_754 Depth=3
	s_mov_b32 s17, exec_lo
	s_mov_b32 s16, exec_lo
	s_wait_alu 0xfffe
	v_mbcnt_lo_u32_b32 v8, s17, 0
	s_wait_storecnt 0x0
	s_wait_loadcnt_dscnt 0x0
	global_inv scope:SCOPE_DEV
	v_cmpx_eq_u32_e32 0, v8
	s_cbranch_execz .LBB6_787
; %bb.786:                              ;   in Loop: Header=BB6_754 Depth=3
	s_bcnt1_i32_b32 s17, s17
	s_wait_alu 0xfffe
	v_dual_mov_b32 v9, v2 :: v_dual_mov_b32 v8, s17
	s_wait_loadcnt 0x0
	ds_add_u64 v0, v[8:9]
	s_trap 2
.LBB6_787:                              ;   in Loop: Header=BB6_754 Depth=3
	s_or_b32 exec_lo, exec_lo, s16
	s_trap 2
	ds_load_b64 v[8:9], v0
	s_wait_dscnt 0x0
	global_inv scope:SCOPE_SE
	v_add_co_u32 v70, vcc_lo, v70, v135
	s_wait_alu 0xfffd
	v_add_co_ci_u32_e64 v71, null, 0, v71, vcc_lo
	s_mov_b32 s16, exec_lo
	v_cmpx_lt_u64_e64 v[8:9], v[70:71]
	s_cbranch_execz .LBB6_796
; %bb.788:                              ;   in Loop: Header=BB6_754 Depth=3
	s_mov_b32 s17, 0
	s_mov_b32 s25, 0
                                        ; implicit-def: $sgpr23
                                        ; implicit-def: $sgpr24
	s_branch .LBB6_790
.LBB6_789:                              ;   in Loop: Header=BB6_790 Depth=4
	s_wait_alu 0xfffe
	s_or_b32 exec_lo, exec_lo, s27
	s_delay_alu instid0(SALU_CYCLE_1)
	s_and_b32 s26, exec_lo, s28
	s_wait_alu 0xfffe
	s_or_b32 s17, s26, s17
	s_and_not1_b32 s23, s23, exec_lo
	s_and_b32 s26, s24, exec_lo
	s_wait_alu 0xfffe
	s_or_b32 s23, s23, s26
	s_and_not1_b32 exec_lo, exec_lo, s17
	s_cbranch_execz .LBB6_794
.LBB6_790:                              ;   Parent Loop BB6_47 Depth=1
                                        ;     Parent Loop BB6_751 Depth=2
                                        ;       Parent Loop BB6_754 Depth=3
                                        ; =>      This Inner Loop Header: Depth=4
	s_wait_alu 0xfffe
	s_add_co_i32 s25, s25, 1
	s_wait_alu 0xfffe
	s_cmp_lg_u32 s25, 0x2710
	s_cselect_b32 s26, -1, 0
	s_wait_alu 0xfffe
	s_and_b32 vcc_lo, exec_lo, s26
	s_wait_alu 0xfffe
	s_cbranch_vccz .LBB6_792
; %bb.791:                              ;   in Loop: Header=BB6_790 Depth=4
	s_mov_b32 s28, -1
	s_or_b32 s24, s24, exec_lo
	s_and_saveexec_b32 s27, s26
	s_cbranch_execz .LBB6_789
	s_branch .LBB6_793
.LBB6_792:                              ;   in Loop: Header=BB6_790 Depth=4
	s_trap 2
	ds_load_b64 v[8:9], v0
	s_and_not1_b32 s26, s26, exec_lo
	s_mov_b32 s25, 0
	s_wait_loadcnt_dscnt 0x0
	flat_load_b32 v8, v[8:9] scope:SCOPE_SYS
	s_wait_loadcnt_dscnt 0x0
	global_inv scope:SCOPE_SYS
	v_cmp_eq_u32_e32 vcc_lo, 0, v8
	s_and_b32 s27, vcc_lo, exec_lo
	s_wait_alu 0xfffe
	s_or_b32 s26, s26, s27
	s_mov_b32 s28, -1
	s_or_b32 s24, s24, exec_lo
	s_wait_alu 0xfffe
	s_and_saveexec_b32 s27, s26
	s_cbranch_execz .LBB6_789
.LBB6_793:                              ;   in Loop: Header=BB6_790 Depth=4
	s_sleep 1
	s_trap 2
	ds_load_b64 v[8:9], v0
	s_wait_dscnt 0x0
	global_inv scope:SCOPE_SE
	s_wait_alu 0xfffe
	s_and_not1_b32 s24, s24, exec_lo
	v_cmp_ge_u64_e32 vcc_lo, v[8:9], v[70:71]
	s_or_not1_b32 s28, vcc_lo, exec_lo
	s_branch .LBB6_789
.LBB6_794:                              ;   in Loop: Header=BB6_754 Depth=3
	s_or_b32 exec_lo, exec_lo, s17
	s_wait_alu 0xfffe
	s_and_saveexec_b32 s17, s23
	s_wait_alu 0xfffe
	s_xor_b32 s17, exec_lo, s17
	s_cbranch_execz .LBB6_796
; %bb.795:                              ;   in Loop: Header=BB6_754 Depth=3
	ds_store_b32 v0, v145
	s_trap 2
.LBB6_796:                              ;   in Loop: Header=BB6_754 Depth=3
	s_wait_alu 0xfffe
	s_or_b32 exec_lo, exec_lo, s16
	;;#ASMSTART
	s_wakeup
	;;#ASMEND
.LBB6_797:                              ;   in Loop: Header=BB6_754 Depth=3
	s_wait_alu 0xfffe
	s_or_b32 exec_lo, exec_lo, s15
.LBB6_798:                              ;   in Loop: Header=BB6_754 Depth=3
	s_wait_alu 0xfffe
	s_and_not1_saveexec_b32 s14, s14
	s_cbranch_execz .LBB6_800
; %bb.799:                              ;   in Loop: Header=BB6_754 Depth=3
	s_wait_storecnt 0x0
	s_wait_loadcnt_dscnt 0x0
	global_inv scope:SCOPE_DEV
	s_barrier_signal -1
	s_barrier_wait -1
.LBB6_800:                              ;   in Loop: Header=BB6_754 Depth=3
	s_wait_alu 0xfffe
	s_or_b32 exec_lo, exec_lo, s14
.LBB6_801:                              ;   in Loop: Header=BB6_754 Depth=3
	s_wait_alu 0xfffe
	s_or_b32 exec_lo, exec_lo, s13
	s_trap 2
	ds_load_b32 v8, v0
	v_and_b32_e32 v9, 0x4000, v30
	s_xor_b32 s13, s1, -1
	s_delay_alu instid0(VALU_DEP_1)
	v_cmp_ne_u32_e32 vcc_lo, 0, v9
	s_wait_alu 0xfffe
	s_and_b32 s14, s13, vcc_lo
	s_wait_alu 0xfffe
	s_and_saveexec_b32 s13, s14
	s_cbranch_execz .LBB6_820
; %bb.802:                              ;   in Loop: Header=BB6_754 Depth=3
	s_and_saveexec_b32 s14, s3
	s_wait_alu 0xfffe
	s_xor_b32 s14, exec_lo, s14
	s_cbranch_execz .LBB6_817
; %bb.803:                              ;   in Loop: Header=BB6_754 Depth=3
	s_and_saveexec_b32 s15, s6
	s_cbranch_execz .LBB6_816
; %bb.804:                              ;   in Loop: Header=BB6_754 Depth=3
	s_mov_b32 s17, exec_lo
	s_mov_b32 s16, exec_lo
	s_wait_alu 0xfffe
	v_mbcnt_lo_u32_b32 v9, s17, 0
	s_wait_storecnt 0x0
	s_wait_loadcnt_dscnt 0x0
	global_inv scope:SCOPE_DEV
	v_cmpx_eq_u32_e32 0, v9
	s_cbranch_execz .LBB6_806
; %bb.805:                              ;   in Loop: Header=BB6_754 Depth=3
	s_bcnt1_i32_b32 s17, s17
	s_wait_alu 0xfffe
	v_dual_mov_b32 v10, v2 :: v_dual_mov_b32 v9, s17
	s_wait_loadcnt 0x0
	ds_add_u64 v0, v[9:10]
	s_trap 2
.LBB6_806:                              ;   in Loop: Header=BB6_754 Depth=3
	s_or_b32 exec_lo, exec_lo, s16
	s_trap 2
	ds_load_b64 v[9:10], v0
	s_wait_dscnt 0x0
	global_inv scope:SCOPE_SE
	v_add_co_u32 v70, vcc_lo, v70, v135
	s_wait_alu 0xfffd
	v_add_co_ci_u32_e64 v71, null, 0, v71, vcc_lo
	s_mov_b32 s16, exec_lo
	v_cmpx_lt_u64_e64 v[9:10], v[70:71]
	s_cbranch_execz .LBB6_815
; %bb.807:                              ;   in Loop: Header=BB6_754 Depth=3
	s_mov_b32 s17, 0
	s_mov_b32 s25, 0
                                        ; implicit-def: $sgpr23
                                        ; implicit-def: $sgpr24
	s_branch .LBB6_809
.LBB6_808:                              ;   in Loop: Header=BB6_809 Depth=4
	s_wait_alu 0xfffe
	s_or_b32 exec_lo, exec_lo, s27
	s_delay_alu instid0(SALU_CYCLE_1)
	s_and_b32 s26, exec_lo, s28
	s_wait_alu 0xfffe
	s_or_b32 s17, s26, s17
	s_and_not1_b32 s23, s23, exec_lo
	s_and_b32 s26, s24, exec_lo
	s_wait_alu 0xfffe
	s_or_b32 s23, s23, s26
	s_and_not1_b32 exec_lo, exec_lo, s17
	s_cbranch_execz .LBB6_813
.LBB6_809:                              ;   Parent Loop BB6_47 Depth=1
                                        ;     Parent Loop BB6_751 Depth=2
                                        ;       Parent Loop BB6_754 Depth=3
                                        ; =>      This Inner Loop Header: Depth=4
	s_wait_alu 0xfffe
	s_add_co_i32 s25, s25, 1
	s_wait_alu 0xfffe
	s_cmp_lg_u32 s25, 0x2710
	s_cselect_b32 s26, -1, 0
	s_wait_alu 0xfffe
	s_and_b32 vcc_lo, exec_lo, s26
	s_wait_alu 0xfffe
	s_cbranch_vccz .LBB6_811
; %bb.810:                              ;   in Loop: Header=BB6_809 Depth=4
	s_mov_b32 s28, -1
	s_or_b32 s24, s24, exec_lo
	s_and_saveexec_b32 s27, s26
	s_cbranch_execz .LBB6_808
	s_branch .LBB6_812
.LBB6_811:                              ;   in Loop: Header=BB6_809 Depth=4
	s_trap 2
	ds_load_b64 v[9:10], v0
	s_and_not1_b32 s26, s26, exec_lo
	s_mov_b32 s25, 0
	s_wait_loadcnt_dscnt 0x0
	flat_load_b32 v9, v[9:10] scope:SCOPE_SYS
	s_wait_loadcnt_dscnt 0x0
	global_inv scope:SCOPE_SYS
	v_cmp_eq_u32_e32 vcc_lo, 0, v9
	s_and_b32 s27, vcc_lo, exec_lo
	s_wait_alu 0xfffe
	s_or_b32 s26, s26, s27
	s_mov_b32 s28, -1
	s_or_b32 s24, s24, exec_lo
	s_wait_alu 0xfffe
	s_and_saveexec_b32 s27, s26
	s_cbranch_execz .LBB6_808
.LBB6_812:                              ;   in Loop: Header=BB6_809 Depth=4
	s_sleep 1
	s_trap 2
	ds_load_b64 v[9:10], v0
	s_wait_dscnt 0x0
	global_inv scope:SCOPE_SE
	s_wait_alu 0xfffe
	s_and_not1_b32 s24, s24, exec_lo
	v_cmp_ge_u64_e32 vcc_lo, v[9:10], v[70:71]
	s_or_not1_b32 s28, vcc_lo, exec_lo
	s_branch .LBB6_808
.LBB6_813:                              ;   in Loop: Header=BB6_754 Depth=3
	s_or_b32 exec_lo, exec_lo, s17
	s_wait_alu 0xfffe
	s_and_saveexec_b32 s17, s23
	s_wait_alu 0xfffe
	s_xor_b32 s17, exec_lo, s17
	s_cbranch_execz .LBB6_815
; %bb.814:                              ;   in Loop: Header=BB6_754 Depth=3
	ds_store_b32 v0, v145
	s_trap 2
.LBB6_815:                              ;   in Loop: Header=BB6_754 Depth=3
	s_wait_alu 0xfffe
	s_or_b32 exec_lo, exec_lo, s16
	;;#ASMSTART
	s_wakeup
	;;#ASMEND
.LBB6_816:                              ;   in Loop: Header=BB6_754 Depth=3
	s_wait_alu 0xfffe
	s_or_b32 exec_lo, exec_lo, s15
.LBB6_817:                              ;   in Loop: Header=BB6_754 Depth=3
	s_wait_alu 0xfffe
	s_and_not1_saveexec_b32 s14, s14
	s_cbranch_execz .LBB6_819
; %bb.818:                              ;   in Loop: Header=BB6_754 Depth=3
	s_wait_storecnt 0x0
	s_wait_loadcnt_dscnt 0x0
	global_inv scope:SCOPE_DEV
	s_barrier_signal -1
	s_barrier_wait -1
.LBB6_819:                              ;   in Loop: Header=BB6_754 Depth=3
	s_wait_alu 0xfffe
	s_or_b32 exec_lo, exec_lo, s14
.LBB6_820:                              ;   in Loop: Header=BB6_754 Depth=3
	s_wait_alu 0xfffe
	s_or_b32 exec_lo, exec_lo, s13
	s_trap 2
	ds_load_b64 v[13:14], v0
	s_wait_dscnt 0x0
	v_cmp_eq_u64_e32 vcc_lo, 0, v[13:14]
	s_cbranch_vccnz .LBB6_829
; %bb.821:                              ;   in Loop: Header=BB6_754 Depth=3
	s_trap 2
	ds_load_b64 v[15:16], v0
	s_wait_dscnt 0x0
	v_cmp_eq_u64_e32 vcc_lo, 0, v[15:16]
	s_cbranch_vccnz .LBB6_829
; %bb.822:                              ;   in Loop: Header=BB6_754 Depth=3
	s_trap 2
	ds_load_b64 v[17:18], v0
	v_cmp_eq_u32_e64 s13, 0, v8
	s_wait_alu 0xf1ff
	s_delay_alu instid0(VALU_DEP_1)
	v_cndmask_b32_e64 v24, 0, v12, s13
	s_mov_b32 s13, -1
	s_wait_dscnt 0x0
	v_cmp_ne_u64_e32 vcc_lo, 0, v[17:18]
	s_cbranch_vccz .LBB6_860
; %bb.823:                              ;   in Loop: Header=BB6_754 Depth=3
	s_and_saveexec_b32 s14, s11
	s_cbranch_execz .LBB6_825
; %bb.824:                              ;   in Loop: Header=BB6_754 Depth=3
	ds_load_b32 v8, v0 offset:720
	s_wait_dscnt 0x0
	v_and_b32_e32 v8, 15, v8
	s_delay_alu instid0(VALU_DEP_1)
	v_cmp_eq_u32_e32 vcc_lo, 0, v8
	s_or_not1_b32 s13, vcc_lo, exec_lo
.LBB6_825:                              ;   in Loop: Header=BB6_754 Depth=3
	s_wait_alu 0xfffe
	s_or_b32 exec_lo, exec_lo, s14
	s_and_saveexec_b32 s14, s12
	s_cbranch_execz .LBB6_827
; %bb.826:                              ;   in Loop: Header=BB6_754 Depth=3
	ds_load_b32 v8, v0 offset:784
	s_wait_dscnt 0x0
	v_and_b32_e32 v8, 15, v8
	s_delay_alu instid0(VALU_DEP_1)
	v_cmp_eq_u32_e32 vcc_lo, 0, v8
	s_and_b32 s15, s13, vcc_lo
	s_and_not1_b32 s13, s13, exec_lo
	s_wait_alu 0xfffe
	s_and_b32 s15, s15, exec_lo
	s_wait_alu 0xfffe
	s_or_b32 s13, s13, s15
.LBB6_827:                              ;   in Loop: Header=BB6_754 Depth=3
	s_wait_alu 0xfffe
	s_or_b32 exec_lo, exec_lo, s14
	s_xor_b32 s13, s13, -1
	v_dual_mov_b32 v19, 0 :: v_dual_mov_b32 v20, v24
	s_wait_alu 0xfffe
	v_cndmask_b32_e64 v8, 0, 1, s13
	v_mov_b32_e32 v25, v0
	s_mov_b32 s13, -1
	s_delay_alu instid0(VALU_DEP_2)
	v_cmp_ne_u32_e32 vcc_lo, 0, v8
	v_mov_b32_e32 v8, v163
	s_cbranch_vccz .LBB6_834
; %bb.828:                              ;   in Loop: Header=BB6_754 Depth=3
	s_wait_alu 0xfffe
	s_and_saveexec_b32 s15, s13
	s_cbranch_execnz .LBB6_849
	s_branch .LBB6_859
.LBB6_829:                              ;   in Loop: Header=BB6_754 Depth=3
	s_mov_b32 s13, 0
	s_and_saveexec_b32 s14, s2
	s_cbranch_execnz .LBB6_890
.LBB6_830:                              ;   in Loop: Header=BB6_754 Depth=3
	s_wait_alu 0xfffe
	s_or_b32 exec_lo, exec_lo, s14
                                        ; implicit-def: $vgpr8
	s_and_saveexec_b32 s14, s10
	s_wait_alu 0xfffe
	s_xor_b32 s14, exec_lo, s14
	s_cbranch_execz .LBB6_908
.LBB6_831:                              ;   in Loop: Header=BB6_754 Depth=3
	v_and_b32_e32 v8, 16, v30
	s_delay_alu instid0(VALU_DEP_1)
	v_cmp_ne_u32_e32 vcc_lo, 0, v8
	v_and_b32_e32 v8, 16, v30
	s_and_b32 s15, vcc_lo, s13
	s_wait_alu 0xfffe
	s_and_saveexec_b32 s13, s15
	s_cbranch_execz .LBB6_833
; %bb.832:                              ;   in Loop: Header=BB6_754 Depth=3
	v_mov_b32_e32 v8, 1
	global_wb scope:SCOPE_SYS
	s_wait_storecnt 0x0
	s_wait_loadcnt_dscnt 0x0
	global_inv scope:SCOPE_SYS
.LBB6_833:                              ;   in Loop: Header=BB6_754 Depth=3
	s_wait_alu 0xfffe
	s_or_b32 exec_lo, exec_lo, s13
	s_and_not1_saveexec_b32 s13, s14
	s_cbranch_execz .LBB6_927
	s_branch .LBB6_909
.LBB6_834:                              ;   in Loop: Header=BB6_754 Depth=3
	v_ashrrev_i32_e32 v8, 31, v24
	s_mov_b32 s14, exec_lo
	s_delay_alu instid0(VALU_DEP_1) | instskip(NEXT) | instid1(VALU_DEP_1)
	v_lshrrev_b32_e32 v8, 21, v8
	v_add_nc_u32_e32 v8, v24, v8
	s_delay_alu instid0(VALU_DEP_1) | instskip(NEXT) | instid1(VALU_DEP_1)
	v_ashrrev_i32_e32 v25, 11, v8
	v_sub_nc_u32_e32 v27, v25, v163
	s_delay_alu instid0(VALU_DEP_1)
	v_cmpx_lt_i32_e32 0, v27
	s_cbranch_execz .LBB6_838
; %bb.835:                              ;   in Loop: Header=BB6_754 Depth=3
	v_add_co_u32 v8, vcc_lo, v13, v179
	s_wait_alu 0xfffd
	v_add_co_ci_u32_e64 v9, null, v14, v181, vcc_lo
	v_add_co_u32 v10, vcc_lo, v15, v179
	s_wait_alu 0xfffd
	v_add_co_ci_u32_e64 v11, null, v16, v181, vcc_lo
	v_add_co_u32 v19, vcc_lo, v17, v179
	s_wait_alu 0xfffd
	v_add_co_ci_u32_e64 v20, null, v18, v181, vcc_lo
	s_mov_b32 s15, 0
.LBB6_836:                              ;   Parent Loop BB6_47 Depth=1
                                        ;     Parent Loop BB6_751 Depth=2
                                        ;       Parent Loop BB6_754 Depth=3
                                        ; =>      This Inner Loop Header: Depth=4
	s_clause 0x3
	global_load_b128 v[32:35], v[8:9], off th:TH_LOAD_NT
	global_load_b128 v[36:39], v[8:9], off offset:512 th:TH_LOAD_NT
	global_load_b128 v[48:51], v[8:9], off offset:1024 th:TH_LOAD_NT
	;; [unrolled: 1-line block ×3, first 2 shown]
	v_sub_nc_u32_e32 v27, v27, v135
	v_add_co_u32 v8, vcc_lo, v8, v151
	s_wait_alu 0xfffd
	v_add_co_ci_u32_e64 v9, null, 0, v9, vcc_lo
	s_delay_alu instid0(VALU_DEP_3)
	v_cmp_gt_i32_e32 vcc_lo, 1, v27
	s_wait_loadcnt 0x3
	global_store_b128 v[10:11], v[32:35], off th:TH_STORE_NT
	s_wait_loadcnt 0x2
	global_store_b128 v[10:11], v[36:39], off offset:512 th:TH_STORE_NT
	s_wait_loadcnt 0x1
	global_store_b128 v[10:11], v[48:51], off offset:1024 th:TH_STORE_NT
	s_wait_loadcnt 0x0
	global_store_b128 v[10:11], v[100:103], off offset:1536 th:TH_STORE_NT
	s_clause 0x3
	global_store_b128 v[19:20], v[32:35], off th:TH_STORE_NT
	global_store_b128 v[19:20], v[36:39], off offset:512 th:TH_STORE_NT
	global_store_b128 v[19:20], v[48:51], off offset:1024 th:TH_STORE_NT
	;; [unrolled: 1-line block ×3, first 2 shown]
	v_add_co_u32 v10, s13, v10, v151
	s_wait_alu 0xf1fe
	v_add_co_ci_u32_e64 v11, null, 0, v11, s13
	v_add_co_u32 v19, s13, v19, v151
	s_wait_alu 0xf1ff
	v_add_co_ci_u32_e64 v20, null, 0, v20, s13
	s_or_b32 s15, vcc_lo, s15
	s_wait_alu 0xfffe
	s_and_not1_b32 exec_lo, exec_lo, s15
	s_cbranch_execnz .LBB6_836
; %bb.837:                              ;   in Loop: Header=BB6_754 Depth=3
	s_or_b32 exec_lo, exec_lo, s15
.LBB6_838:                              ;   in Loop: Header=BB6_754 Depth=3
	s_wait_alu 0xfffe
	s_or_b32 exec_lo, exec_lo, s14
	v_dual_mov_b32 v19, 0 :: v_dual_lshlrev_b32 v26, 11, v25
	s_mov_b32 s13, 0
	s_mov_b32 s23, exec_lo
                                        ; implicit-def: $vgpr20
                                        ; implicit-def: $vgpr25
                                        ; implicit-def: $vgpr8
	s_delay_alu instid0(VALU_DEP_1)
	v_cmpx_ne_u32_e64 v24, v26
	s_cbranch_execz .LBB6_848
; %bb.839:                              ;   in Loop: Header=BB6_754 Depth=3
	v_lshlrev_b32_e32 v8, 5, v27
	v_sub_nc_u32_e32 v10, v24, v26
	s_mov_b32 s24, exec_lo
	s_delay_alu instid0(VALU_DEP_2) | instskip(NEXT) | instid1(VALU_DEP_2)
	v_sub_nc_u32_e32 v8, v165, v8
	v_ashrrev_i32_e32 v11, 31, v10
	s_delay_alu instid0(VALU_DEP_2) | instskip(NEXT) | instid1(VALU_DEP_2)
	v_ashrrev_i32_e32 v9, 31, v8
	v_lshrrev_b32_e32 v11, 23, v11
	s_delay_alu instid0(VALU_DEP_2) | instskip(NEXT) | instid1(VALU_DEP_2)
	v_lshrrev_b32_e32 v9, 27, v9
	v_add_nc_u32_e32 v11, v10, v11
	s_delay_alu instid0(VALU_DEP_2) | instskip(NEXT) | instid1(VALU_DEP_2)
	v_add_nc_u32_e32 v9, v8, v9
	v_and_b32_e32 v27, 0xfffffe00, v11
	v_ashrrev_i32_e32 v11, 9, v11
	s_delay_alu instid0(VALU_DEP_3) | instskip(NEXT) | instid1(VALU_DEP_3)
	v_and_b32_e32 v19, 0xffffffe0, v9
	v_sub_nc_u32_e32 v33, v10, v27
	v_ashrrev_i32_e32 v9, 5, v9
	s_delay_alu instid0(VALU_DEP_3) | instskip(NEXT) | instid1(VALU_DEP_3)
	v_sub_nc_u32_e32 v32, v8, v19
	v_cmp_lt_i32_e64 s13, 15, v33
	s_delay_alu instid0(VALU_DEP_2) | instskip(SKIP_1) | instid1(VALU_DEP_2)
	v_lshlrev_b32_e32 v8, 4, v32
	s_wait_alu 0xf1fe
	v_add_co_ci_u32_e64 v11, null, 0, v11, s13
	s_delay_alu instid0(VALU_DEP_2) | instskip(NEXT) | instid1(VALU_DEP_2)
	v_lshl_add_u32 v8, v9, 9, v8
	v_sub_nc_u32_e32 v34, v11, v9
	s_delay_alu instid0(VALU_DEP_2) | instskip(NEXT) | instid1(VALU_DEP_1)
	v_sub_nc_u32_e32 v25, v10, v8
	v_cmpx_lt_i32_e32 15, v25
	s_cbranch_execz .LBB6_845
; %bb.840:                              ;   in Loop: Header=BB6_754 Depth=3
	v_add_nc_u32_e32 v8, v8, v26
	s_mov_b32 s25, 0
	s_delay_alu instid0(VALU_DEP_1) | instskip(SKIP_2) | instid1(VALU_DEP_2)
	v_ashrrev_i32_e32 v9, 31, v8
	v_add_co_u32 v19, vcc_lo, v8, v13
	s_wait_alu 0xfffd
	v_add_co_ci_u32_e64 v20, null, v9, v14, vcc_lo
	v_add_co_u32 v35, vcc_lo, v8, v15
	s_wait_alu 0xfffd
	v_add_co_ci_u32_e64 v36, null, v9, v16, vcc_lo
	;; [unrolled: 3-line block ×3, first 2 shown]
.LBB6_841:                              ;   Parent Loop BB6_47 Depth=1
                                        ;     Parent Loop BB6_751 Depth=2
                                        ;       Parent Loop BB6_754 Depth=3
                                        ; =>      This Loop Header: Depth=4
                                        ;           Child Loop BB6_842 Depth 5
	global_load_b128 v[8:11], v[19:20], off th:TH_LOAD_NT
	s_mov_b64 s[16:17], 0
	s_mov_b32 s26, -1
.LBB6_842:                              ;   Parent Loop BB6_47 Depth=1
                                        ;     Parent Loop BB6_751 Depth=2
                                        ;       Parent Loop BB6_754 Depth=3
                                        ;         Parent Loop BB6_841 Depth=4
                                        ; =>        This Inner Loop Header: Depth=5
	s_wait_alu 0xfffe
	s_cmp_eq_u32 s16, 1
	s_cselect_b32 vcc_lo, -1, 0
	s_cmp_eq_u32 s16, 0
	s_wait_alu 0xfffe
	v_dual_cndmask_b32 v49, v36, v38 :: v_dual_cndmask_b32 v48, v35, v37
	s_mov_b64 s[16:17], 1
	s_delay_alu instid0(VALU_DEP_1) | instskip(SKIP_1) | instid1(VALU_DEP_2)
	v_add_co_u32 v39, s14, 0x200, v48
	s_wait_alu 0xf1ff
	v_add_co_ci_u32_e64 v50, null, 0, v49, s14
	s_cselect_b32 s14, -1, 0
	s_and_b32 s15, exec_lo, s26
	v_dual_cndmask_b32 v37, v37, v39 :: v_dual_cndmask_b32 v38, v38, v50
	s_wait_alu 0xfffe
	v_cndmask_b32_e64 v36, v36, v50, s14
	v_cndmask_b32_e64 v35, v35, v39, s14
	s_mov_b32 s26, 0
	s_mov_b32 vcc_lo, s15
	s_wait_loadcnt 0x0
	global_store_b128 v[48:49], v[8:11], off th:TH_STORE_NT
	s_wait_alu 0xfffe
	s_cbranch_vccnz .LBB6_842
; %bb.843:                              ;   in Loop: Header=BB6_841 Depth=4
	v_sub_nc_u32_e32 v25, v25, v149
	v_add_co_u32 v35, vcc_lo, v35, v161
	s_wait_alu 0xfffd
	v_add_co_ci_u32_e64 v36, null, v36, v164, vcc_lo
	v_add_co_u32 v37, vcc_lo, v37, v161
	s_wait_alu 0xfffd
	v_add_co_ci_u32_e64 v38, null, v38, v164, vcc_lo
	v_cmp_gt_i32_e32 vcc_lo, 16, v25
	v_add_co_u32 v19, s14, v177, v19
	s_wait_alu 0xf1ff
	v_add_co_ci_u32_e64 v20, null, v178, v20, s14
	v_sub_nc_u32_e32 v34, v34, v135
	s_or_b32 s25, vcc_lo, s25
	s_wait_alu 0xfffe
	s_and_not1_b32 exec_lo, exec_lo, s25
	s_cbranch_execnz .LBB6_841
; %bb.844:                              ;   in Loop: Header=BB6_754 Depth=3
	s_or_b32 exec_lo, exec_lo, s25
.LBB6_845:                              ;   in Loop: Header=BB6_754 Depth=3
	s_delay_alu instid0(SALU_CYCLE_1) | instskip(SKIP_4) | instid1(VALU_DEP_2)
	s_or_b32 exec_lo, exec_lo, s24
	v_and_b32_e32 v9, 15, v24
	v_mov_b32_e32 v19, 0
	s_mov_b32 s14, 0
	s_mov_b32 s15, exec_lo
                                        ; implicit-def: $vgpr25
                                        ; implicit-def: $vgpr8
	v_cndmask_b32_e64 v20, v33, v9, s13
	s_delay_alu instid0(VALU_DEP_1)
	v_cmpx_ne_u32_e32 0, v20
	s_cbranch_execz .LBB6_847
; %bb.846:                              ;   in Loop: Header=BB6_754 Depth=3
	v_cmp_lt_i32_e32 vcc_lo, 0, v34
	v_sub_nc_u32_e32 v9, v33, v9
	s_mov_b32 s14, exec_lo
	s_wait_alu 0xfffd
	v_cndmask_b32_e32 v8, 0, v135, vcc_lo
	s_delay_alu instid0(VALU_DEP_2) | instskip(NEXT) | instid1(VALU_DEP_2)
	v_cndmask_b32_e64 v9, 0, v9, s13
	v_sub_nc_u32_e32 v8, v8, v34
	s_delay_alu instid0(VALU_DEP_2) | instskip(NEXT) | instid1(VALU_DEP_2)
	v_add3_u32 v19, v27, v26, v9
	v_lshl_add_u32 v25, v8, 5, v32
	s_delay_alu instid0(VALU_DEP_1) | instskip(NEXT) | instid1(VALU_DEP_1)
	v_ashrrev_i32_e32 v8, 31, v25
	v_lshrrev_b32_e32 v8, 27, v8
	s_delay_alu instid0(VALU_DEP_1) | instskip(NEXT) | instid1(VALU_DEP_1)
	v_add_nc_u32_e32 v8, v25, v8
	v_ashrrev_i32_e32 v8, 5, v8
.LBB6_847:                              ;   in Loop: Header=BB6_754 Depth=3
	s_wait_alu 0xfffe
	s_or_b32 exec_lo, exec_lo, s15
	s_delay_alu instid0(SALU_CYCLE_1)
	s_and_b32 s13, s14, exec_lo
.LBB6_848:                              ;   in Loop: Header=BB6_754 Depth=3
	s_wait_alu 0xfffe
	s_or_b32 exec_lo, exec_lo, s23
	s_and_saveexec_b32 s15, s13
	s_cbranch_execz .LBB6_859
.LBB6_849:                              ;   in Loop: Header=BB6_754 Depth=3
	v_ashrrev_i32_e32 v9, 31, v20
	s_mov_b32 s14, exec_lo
	s_delay_alu instid0(VALU_DEP_1) | instskip(NEXT) | instid1(VALU_DEP_1)
	v_lshrrev_b32_e32 v9, 22, v9
	v_add_nc_u32_e32 v9, v20, v9
	s_delay_alu instid0(VALU_DEP_1) | instskip(SKIP_1) | instid1(VALU_DEP_2)
	v_ashrrev_i32_e32 v32, 10, v9
	v_ashrrev_i32_e32 v9, 31, v25
	v_sub_nc_u32_e32 v26, v32, v8
	s_delay_alu instid0(VALU_DEP_2) | instskip(NEXT) | instid1(VALU_DEP_2)
	v_lshrrev_b32_e32 v27, 27, v9
	v_cmpx_lt_i32_e32 0, v26
	s_cbranch_execz .LBB6_853
; %bb.850:                              ;   in Loop: Header=BB6_754 Depth=3
	s_delay_alu instid0(VALU_DEP_2)
	v_add_nc_u32_e32 v9, v25, v27
	v_lshlrev_b32_e32 v8, 10, v8
	v_add_co_u32 v35, vcc_lo, 0x3e0, v13
	s_wait_alu 0xfffd
	v_add_co_ci_u32_e64 v36, null, 0, v14, vcc_lo
	v_and_b32_e32 v9, 0xffffffe0, v9
	s_mov_b32 s16, 0
	s_delay_alu instid0(VALU_DEP_1) | instskip(NEXT) | instid1(VALU_DEP_1)
	v_sub_nc_u32_e32 v9, v25, v9
	v_add3_u32 v33, v19, v9, v8
	s_delay_alu instid0(VALU_DEP_1) | instskip(SKIP_2) | instid1(VALU_DEP_2)
	v_ashrrev_i32_e32 v34, 31, v33
	v_add_co_u32 v8, vcc_lo, v33, v15
	s_wait_alu 0xfffd
	v_add_co_ci_u32_e64 v9, null, v34, v16, vcc_lo
	v_add_co_u32 v10, vcc_lo, v33, v17
	s_wait_alu 0xfffd
	v_add_co_ci_u32_e64 v11, null, v34, v18, vcc_lo
	;; [unrolled: 3-line block ×3, first 2 shown]
.LBB6_851:                              ;   Parent Loop BB6_47 Depth=1
                                        ;     Parent Loop BB6_751 Depth=2
                                        ;       Parent Loop BB6_754 Depth=3
                                        ; =>      This Inner Loop Header: Depth=4
	s_clause 0x1f
	flat_load_u8 v33, v[17:18] offset:-992 th:TH_LOAD_NT
	flat_load_u8 v34, v[17:18] offset:-960 th:TH_LOAD_NT
	;; [unrolled: 1-line block ×31, first 2 shown]
	flat_load_u8 v44, v[17:18] th:TH_LOAD_NT
	v_sub_nc_u32_e32 v26, v26, v135
	v_add_co_u32 v17, vcc_lo, v17, v150
	s_wait_alu 0xfffd
	v_add_co_ci_u32_e64 v18, null, 0, v18, vcc_lo
	s_delay_alu instid0(VALU_DEP_3)
	v_cmp_gt_i32_e32 vcc_lo, 1, v26
	s_wait_loadcnt_dscnt 0x1f1f
	flat_store_b8 v[8:9], v33 th:TH_STORE_NT
	s_wait_loadcnt_dscnt 0x1e1f
	flat_store_b8 v[8:9], v34 offset:32 th:TH_STORE_NT
	s_wait_loadcnt_dscnt 0x1d1f
	flat_store_b8 v[8:9], v35 offset:64 th:TH_STORE_NT
	;; [unrolled: 2-line block ×31, first 2 shown]
	s_clause 0x1f
	flat_store_b8 v[10:11], v33 th:TH_STORE_NT
	flat_store_b8 v[10:11], v34 offset:32 th:TH_STORE_NT
	flat_store_b8 v[10:11], v35 offset:64 th:TH_STORE_NT
	;; [unrolled: 1-line block ×31, first 2 shown]
	v_add_co_u32 v8, s13, v8, v150
	s_wait_alu 0xf1ff
	v_add_co_ci_u32_e64 v9, null, 0, v9, s13
	v_add_co_u32 v10, s13, v10, v150
	s_wait_alu 0xf1ff
	v_add_co_ci_u32_e64 v11, null, 0, v11, s13
	s_wait_alu 0xfffe
	s_or_b32 s16, vcc_lo, s16
	s_wait_alu 0xfffe
	s_and_not1_b32 exec_lo, exec_lo, s16
	s_cbranch_execnz .LBB6_851
; %bb.852:                              ;   in Loop: Header=BB6_754 Depth=3
	s_or_b32 exec_lo, exec_lo, s16
.LBB6_853:                              ;   in Loop: Header=BB6_754 Depth=3
	s_wait_alu 0xfffe
	s_or_b32 exec_lo, exec_lo, s14
	v_lshlrev_b32_e32 v8, 10, v32
	s_delay_alu instid0(VALU_DEP_1)
	v_cmp_ne_u32_e32 vcc_lo, v20, v8
	s_and_b32 exec_lo, exec_lo, vcc_lo
	s_cbranch_execz .LBB6_859
; %bb.854:                              ;   in Loop: Header=BB6_754 Depth=3
	v_add_nc_u32_e32 v9, v25, v27
	v_lshlrev_b32_e32 v10, 5, v26
	s_delay_alu instid0(VALU_DEP_2) | instskip(NEXT) | instid1(VALU_DEP_1)
	v_and_b32_e32 v9, 0xffffffe0, v9
	v_sub_nc_u32_e32 v9, v25, v9
	s_delay_alu instid0(VALU_DEP_1) | instskip(NEXT) | instid1(VALU_DEP_1)
	v_sub_nc_u32_e32 v9, v9, v10
	v_add_nc_u32_e32 v8, v8, v9
	s_delay_alu instid0(VALU_DEP_1) | instskip(NEXT) | instid1(VALU_DEP_1)
	v_sub_nc_u32_e32 v10, v20, v8
	v_cmp_lt_i32_e32 vcc_lo, 0, v10
	s_and_b32 exec_lo, exec_lo, vcc_lo
	s_cbranch_execz .LBB6_859
; %bb.855:                              ;   in Loop: Header=BB6_754 Depth=3
	s_trap 2
	ds_load_b64 v[17:18], v0
	ds_load_b128 v[32:35], v0
	v_add_nc_u32_e32 v19, v8, v19
	s_mov_b32 s23, 0
	s_delay_alu instid0(VALU_DEP_1) | instskip(SKIP_3) | instid1(VALU_DEP_2)
	v_ashrrev_i32_e32 v20, 31, v19
	s_wait_dscnt 0x1
	v_add_co_u32 v8, vcc_lo, v17, v19
	s_wait_alu 0xfffd
	v_add_co_ci_u32_e64 v9, null, v18, v20, vcc_lo
	s_wait_dscnt 0x0
	v_add_co_u32 v11, vcc_lo, v32, v19
	s_wait_alu 0xfffd
	v_add_co_ci_u32_e64 v17, null, v33, v20, vcc_lo
	v_add_co_u32 v18, vcc_lo, v34, v19
	s_wait_alu 0xfffd
	v_add_co_ci_u32_e64 v19, null, v35, v20, vcc_lo
.LBB6_856:                              ;   Parent Loop BB6_47 Depth=1
                                        ;     Parent Loop BB6_751 Depth=2
                                        ;       Parent Loop BB6_754 Depth=3
                                        ; =>      This Loop Header: Depth=4
                                        ;           Child Loop BB6_857 Depth 5
	flat_load_u8 v20, v[8:9] th:TH_LOAD_NT
	s_mov_b64 s[16:17], 0
	s_mov_b32 s24, -1
.LBB6_857:                              ;   Parent Loop BB6_47 Depth=1
                                        ;     Parent Loop BB6_751 Depth=2
                                        ;       Parent Loop BB6_754 Depth=3
                                        ;         Parent Loop BB6_856 Depth=4
                                        ; =>        This Inner Loop Header: Depth=5
	s_wait_alu 0xfffe
	s_cmp_eq_u32 s16, 1
	s_cselect_b32 vcc_lo, -1, 0
	s_cmp_eq_u32 s16, 0
	s_wait_alu 0xfffe
	v_dual_cndmask_b32 v26, v17, v19 :: v_dual_cndmask_b32 v25, v11, v18
	s_mov_b64 s[16:17], 1
	s_delay_alu instid0(VALU_DEP_1) | instskip(SKIP_1) | instid1(VALU_DEP_2)
	v_add_co_u32 v27, s13, v25, 32
	s_wait_alu 0xf1ff
	v_add_co_ci_u32_e64 v32, null, 0, v26, s13
	s_cselect_b32 s13, -1, 0
	s_and_b32 s14, exec_lo, s24
	v_dual_cndmask_b32 v18, v18, v27 :: v_dual_cndmask_b32 v19, v19, v32
	s_wait_alu 0xfffe
	v_cndmask_b32_e64 v17, v17, v32, s13
	v_cndmask_b32_e64 v11, v11, v27, s13
	s_mov_b32 s24, 0
	s_mov_b32 vcc_lo, s14
	s_wait_loadcnt_dscnt 0x0
	flat_store_b8 v[25:26], v20 th:TH_STORE_NT
	s_wait_alu 0xfffe
	s_cbranch_vccnz .LBB6_857
; %bb.858:                              ;   in Loop: Header=BB6_856 Depth=4
	v_sub_nc_u32_e32 v10, v10, v144
	v_add_co_u32 v11, vcc_lo, v11, v160
	s_wait_alu 0xfffd
	v_add_co_ci_u32_e64 v17, null, v17, v162, vcc_lo
	v_add_co_u32 v18, vcc_lo, v18, v160
	s_wait_alu 0xfffd
	v_add_co_ci_u32_e64 v19, null, v19, v162, vcc_lo
	v_cmp_gt_i32_e32 vcc_lo, 1, v10
	v_add_co_u32 v8, s13, v166, v8
	s_wait_alu 0xf1ff
	v_add_co_ci_u32_e64 v9, null, v167, v9, s13
	s_or_b32 s23, vcc_lo, s23
	s_wait_alu 0xfffe
	s_and_not1_b32 exec_lo, exec_lo, s23
	s_cbranch_execnz .LBB6_856
.LBB6_859:                              ;   in Loop: Header=BB6_754 Depth=3
	s_wait_alu 0xfffe
	s_or_b32 exec_lo, exec_lo, s15
	s_mov_b32 s13, 0
.LBB6_860:                              ;   in Loop: Header=BB6_754 Depth=3
	s_wait_alu 0xfffe
	s_and_b32 vcc_lo, exec_lo, s13
	s_wait_alu 0xfffe
	s_cbranch_vccz .LBB6_889
; %bb.861:                              ;   in Loop: Header=BB6_754 Depth=3
	s_mov_b32 s13, -1
	s_and_saveexec_b32 s14, s11
	s_cbranch_execz .LBB6_863
; %bb.862:                              ;   in Loop: Header=BB6_754 Depth=3
	ds_load_b32 v8, v0 offset:720
	s_wait_dscnt 0x0
	v_and_b32_e32 v8, 15, v8
	s_delay_alu instid0(VALU_DEP_1)
	v_cmp_eq_u32_e32 vcc_lo, 0, v8
	s_or_not1_b32 s13, vcc_lo, exec_lo
.LBB6_863:                              ;   in Loop: Header=BB6_754 Depth=3
	s_wait_alu 0xfffe
	s_or_b32 exec_lo, exec_lo, s14
	s_and_saveexec_b32 s14, s7
	s_cbranch_execz .LBB6_865
; %bb.864:                              ;   in Loop: Header=BB6_754 Depth=3
	ds_load_b32 v8, v0 offset:784
	s_wait_dscnt 0x0
	v_and_b32_e32 v8, 15, v8
	s_delay_alu instid0(VALU_DEP_1)
	v_cmp_eq_u32_e32 vcc_lo, 0, v8
	s_and_b32 s15, s13, vcc_lo
	s_and_not1_b32 s13, s13, exec_lo
	s_wait_alu 0xfffe
	s_and_b32 s15, s15, exec_lo
	s_wait_alu 0xfffe
	s_or_b32 s13, s13, s15
.LBB6_865:                              ;   in Loop: Header=BB6_754 Depth=3
	s_wait_alu 0xfffe
	s_or_b32 exec_lo, exec_lo, s14
	s_xor_b32 s13, s13, -1
	v_dual_mov_b32 v10, 0 :: v_dual_mov_b32 v9, v0
	s_wait_alu 0xfffe
	v_cndmask_b32_e64 v8, 0, 1, s13
	s_mov_b32 s13, -1
	v_mov_b32_e32 v25, v163
	s_delay_alu instid0(VALU_DEP_2)
	v_cmp_ne_u32_e32 vcc_lo, 0, v8
	v_mov_b32_e32 v8, v24
	s_cbranch_vccz .LBB6_867
; %bb.866:                              ;   in Loop: Header=BB6_754 Depth=3
	s_wait_alu 0xfffe
	s_and_saveexec_b32 s14, s13
	s_cbranch_execnz .LBB6_880
	s_branch .LBB6_888
.LBB6_867:                              ;   in Loop: Header=BB6_754 Depth=3
	v_ashrrev_i32_e32 v8, 31, v24
	s_mov_b32 s13, exec_lo
	s_delay_alu instid0(VALU_DEP_1) | instskip(NEXT) | instid1(VALU_DEP_1)
	v_lshrrev_b32_e32 v8, 20, v8
	v_add_nc_u32_e32 v8, v24, v8
	s_delay_alu instid0(VALU_DEP_1) | instskip(NEXT) | instid1(VALU_DEP_1)
	v_ashrrev_i32_e32 v18, 12, v8
	v_sub_nc_u32_e32 v17, v18, v163
	s_delay_alu instid0(VALU_DEP_1)
	v_cmpx_lt_i32_e32 0, v17
	s_cbranch_execz .LBB6_871
; %bb.868:                              ;   in Loop: Header=BB6_754 Depth=3
	v_dual_mov_b32 v8, v15 :: v_dual_mov_b32 v9, v16
	v_dual_mov_b32 v10, v13 :: v_dual_mov_b32 v11, v14
	s_mov_b32 s14, 0
.LBB6_869:                              ;   Parent Loop BB6_47 Depth=1
                                        ;     Parent Loop BB6_751 Depth=2
                                        ;       Parent Loop BB6_754 Depth=3
                                        ; =>      This Inner Loop Header: Depth=4
	s_delay_alu instid0(VALU_DEP_1) | instskip(SKIP_1) | instid1(VALU_DEP_2)
	v_add_co_u32 v19, vcc_lo, v176, v10
	s_wait_alu 0xfffd
	v_add_co_ci_u32_e64 v20, null, v180, v11, vcc_lo
	v_sub_nc_u32_e32 v17, v17, v135
	s_clause 0x7
	global_load_b128 v[32:35], v[19:20], off th:TH_LOAD_NT
	global_load_b128 v[36:39], v[19:20], off offset:512 th:TH_LOAD_NT
	global_load_b128 v[48:51], v[19:20], off offset:1024 th:TH_LOAD_NT
	;; [unrolled: 1-line block ×7, first 2 shown]
	v_add_co_u32 v19, vcc_lo, v176, v8
	s_wait_alu 0xfffd
	v_add_co_ci_u32_e64 v20, null, v180, v9, vcc_lo
	v_add_co_u32 v10, vcc_lo, v10, v148
	s_wait_alu 0xfffd
	v_add_co_ci_u32_e64 v11, null, 0, v11, vcc_lo
	;; [unrolled: 3-line block ×3, first 2 shown]
	v_cmp_gt_i32_e32 vcc_lo, 1, v17
	s_wait_loadcnt 0x7
	global_store_b128 v[19:20], v[32:35], off th:TH_STORE_NT
	s_wait_loadcnt 0x6
	global_store_b128 v[19:20], v[36:39], off offset:512 th:TH_STORE_NT
	s_wait_loadcnt 0x5
	global_store_b128 v[19:20], v[48:51], off offset:1024 th:TH_STORE_NT
	;; [unrolled: 2-line block ×7, first 2 shown]
	s_wait_alu 0xfffe
	s_or_b32 s14, vcc_lo, s14
	s_wait_alu 0xfffe
	s_and_not1_b32 exec_lo, exec_lo, s14
	s_cbranch_execnz .LBB6_869
; %bb.870:                              ;   in Loop: Header=BB6_754 Depth=3
	s_or_b32 exec_lo, exec_lo, s14
.LBB6_871:                              ;   in Loop: Header=BB6_754 Depth=3
	s_wait_alu 0xfffe
	s_or_b32 exec_lo, exec_lo, s13
	v_dual_mov_b32 v10, 0 :: v_dual_lshlrev_b32 v11, 12, v18
	s_mov_b32 s13, 0
	s_mov_b32 s15, exec_lo
                                        ; implicit-def: $vgpr8
                                        ; implicit-def: $vgpr9
                                        ; implicit-def: $vgpr25
	s_delay_alu instid0(VALU_DEP_1)
	v_cmpx_ne_u32_e64 v24, v11
	s_cbranch_execz .LBB6_879
; %bb.872:                              ;   in Loop: Header=BB6_754 Depth=3
	v_lshlrev_b32_e32 v8, 5, v17
	v_sub_nc_u32_e32 v10, v24, v11
	s_mov_b32 s16, exec_lo
	s_delay_alu instid0(VALU_DEP_2) | instskip(NEXT) | instid1(VALU_DEP_2)
	v_sub_nc_u32_e32 v8, v165, v8
	v_ashrrev_i32_e32 v17, 31, v10
	s_delay_alu instid0(VALU_DEP_2) | instskip(NEXT) | instid1(VALU_DEP_2)
	v_ashrrev_i32_e32 v9, 31, v8
	v_lshrrev_b32_e32 v17, 23, v17
	s_delay_alu instid0(VALU_DEP_2) | instskip(NEXT) | instid1(VALU_DEP_2)
	v_lshrrev_b32_e32 v9, 27, v9
	v_add_nc_u32_e32 v20, v10, v17
	s_delay_alu instid0(VALU_DEP_2) | instskip(NEXT) | instid1(VALU_DEP_2)
	v_add_nc_u32_e32 v9, v8, v9
	v_and_b32_e32 v17, 0xfffffe00, v20
	v_ashrrev_i32_e32 v20, 9, v20
	s_delay_alu instid0(VALU_DEP_3) | instskip(NEXT) | instid1(VALU_DEP_3)
	v_and_b32_e32 v18, 0xffffffe0, v9
	v_sub_nc_u32_e32 v19, v10, v17
	v_ashrrev_i32_e32 v25, 5, v9
	s_delay_alu instid0(VALU_DEP_3) | instskip(NEXT) | instid1(VALU_DEP_3)
	v_sub_nc_u32_e32 v18, v8, v18
	v_cmp_lt_i32_e32 vcc_lo, 15, v19
	s_delay_alu instid0(VALU_DEP_2) | instskip(SKIP_2) | instid1(VALU_DEP_2)
	v_lshlrev_b32_e32 v8, 4, v18
	s_wait_alu 0xfffd
	v_add_co_ci_u32_e64 v20, null, 0, v20, vcc_lo
	v_lshl_add_u32 v9, v25, 9, v8
	s_delay_alu instid0(VALU_DEP_2) | instskip(NEXT) | instid1(VALU_DEP_2)
	v_sub_nc_u32_e32 v20, v20, v25
	v_sub_nc_u32_e32 v8, v10, v9
	s_delay_alu instid0(VALU_DEP_1)
	v_cmpx_lt_i32_e32 15, v8
	s_cbranch_execz .LBB6_876
; %bb.873:                              ;   in Loop: Header=BB6_754 Depth=3
	v_add_nc_u32_e32 v9, v9, v11
	s_mov_b32 s17, 0
	s_delay_alu instid0(VALU_DEP_1)
	v_ashrrev_i32_e32 v10, 31, v9
.LBB6_874:                              ;   Parent Loop BB6_47 Depth=1
                                        ;     Parent Loop BB6_751 Depth=2
                                        ;       Parent Loop BB6_754 Depth=3
                                        ; =>      This Inner Loop Header: Depth=4
	v_add_co_u32 v25, s13, v13, v9
	s_wait_alu 0xf1fe
	s_delay_alu instid0(VALU_DEP_2)
	v_add_co_ci_u32_e64 v26, null, v14, v10, s13
	v_sub_nc_u32_e32 v8, v8, v149
	v_sub_nc_u32_e32 v20, v20, v135
	global_load_b128 v[32:35], v[25:26], off th:TH_LOAD_NT
	v_add_co_u32 v25, s13, v15, v9
	s_wait_alu 0xf1ff
	v_add_co_ci_u32_e64 v26, null, v16, v10, s13
	v_cmp_gt_i32_e64 s13, 16, v8
	v_add_co_u32 v9, s14, v9, v149
	s_wait_alu 0xf1ff
	v_add_co_ci_u32_e64 v10, null, 0, v10, s14
	s_or_b32 s17, s13, s17
	s_wait_loadcnt 0x0
	global_store_b128 v[25:26], v[32:35], off th:TH_STORE_NT
	s_wait_alu 0xfffe
	s_and_not1_b32 exec_lo, exec_lo, s17
	s_cbranch_execnz .LBB6_874
; %bb.875:                              ;   in Loop: Header=BB6_754 Depth=3
	s_or_b32 exec_lo, exec_lo, s17
.LBB6_876:                              ;   in Loop: Header=BB6_754 Depth=3
	s_wait_alu 0xfffe
	s_or_b32 exec_lo, exec_lo, s16
	v_and_b32_e32 v26, 15, v24
	v_mov_b32_e32 v10, 0
	s_mov_b32 s14, 0
	s_mov_b32 s16, exec_lo
                                        ; implicit-def: $vgpr9
                                        ; implicit-def: $vgpr25
	s_delay_alu instid0(VALU_DEP_2) | instskip(NEXT) | instid1(VALU_DEP_1)
	v_cndmask_b32_e32 v8, v19, v26, vcc_lo
	v_cmpx_ne_u32_e32 0, v8
	s_cbranch_execz .LBB6_878
; %bb.877:                              ;   in Loop: Header=BB6_754 Depth=3
	v_cmp_lt_i32_e64 s13, 0, v20
	s_mov_b32 s14, exec_lo
	s_wait_alu 0xf1ff
	v_cndmask_b32_e64 v9, 0, v135, s13
	s_delay_alu instid0(VALU_DEP_1) | instskip(NEXT) | instid1(VALU_DEP_1)
	v_sub_nc_u32_e32 v9, v9, v20
	v_lshl_add_u32 v9, v9, 5, v18
	v_sub_nc_u32_e32 v18, v19, v26
	s_delay_alu instid0(VALU_DEP_2) | instskip(NEXT) | instid1(VALU_DEP_2)
	v_ashrrev_i32_e32 v10, 31, v9
	v_cndmask_b32_e32 v18, 0, v18, vcc_lo
	s_delay_alu instid0(VALU_DEP_2) | instskip(NEXT) | instid1(VALU_DEP_1)
	v_lshrrev_b32_e32 v10, 27, v10
	v_add_nc_u32_e32 v19, v9, v10
	s_delay_alu instid0(VALU_DEP_3) | instskip(NEXT) | instid1(VALU_DEP_2)
	v_add3_u32 v10, v17, v11, v18
	v_ashrrev_i32_e32 v25, 5, v19
.LBB6_878:                              ;   in Loop: Header=BB6_754 Depth=3
	s_wait_alu 0xfffe
	s_or_b32 exec_lo, exec_lo, s16
	s_delay_alu instid0(SALU_CYCLE_1)
	s_and_b32 s13, s14, exec_lo
.LBB6_879:                              ;   in Loop: Header=BB6_754 Depth=3
	s_wait_alu 0xfffe
	s_or_b32 exec_lo, exec_lo, s15
	s_and_saveexec_b32 s14, s13
	s_cbranch_execz .LBB6_888
.LBB6_880:                              ;   in Loop: Header=BB6_754 Depth=3
	v_ashrrev_i32_e32 v11, 31, v8
	s_mov_b32 s13, exec_lo
	s_delay_alu instid0(VALU_DEP_1) | instskip(NEXT) | instid1(VALU_DEP_1)
	v_lshrrev_b32_e32 v11, 22, v11
	v_add_nc_u32_e32 v11, v8, v11
	s_delay_alu instid0(VALU_DEP_1) | instskip(NEXT) | instid1(VALU_DEP_1)
	v_ashrrev_i32_e32 v17, 10, v11
	v_sub_nc_u32_e32 v11, v17, v25
	s_delay_alu instid0(VALU_DEP_1)
	v_cmpx_lt_i32_e32 0, v11
	s_cbranch_execz .LBB6_884
; %bb.881:                              ;   in Loop: Header=BB6_754 Depth=3
	v_ashrrev_i32_e32 v18, 31, v9
	v_lshlrev_b32_e32 v19, 10, v25
	s_mov_b32 s15, 0
	s_delay_alu instid0(VALU_DEP_2) | instskip(NEXT) | instid1(VALU_DEP_1)
	v_lshrrev_b32_e32 v18, 27, v18
	v_add_nc_u32_e32 v18, v9, v18
	s_delay_alu instid0(VALU_DEP_1) | instskip(NEXT) | instid1(VALU_DEP_1)
	v_and_b32_e32 v18, 0xffffffe0, v18
	v_sub_nc_u32_e32 v18, v9, v18
	s_delay_alu instid0(VALU_DEP_1) | instskip(NEXT) | instid1(VALU_DEP_1)
	v_add3_u32 v18, v10, v18, v19
	v_ashrrev_i32_e32 v19, 31, v18
.LBB6_882:                              ;   Parent Loop BB6_47 Depth=1
                                        ;     Parent Loop BB6_751 Depth=2
                                        ;       Parent Loop BB6_754 Depth=3
                                        ; =>      This Inner Loop Header: Depth=4
	v_add_co_u32 v25, vcc_lo, v18, v13
	s_wait_alu 0xfffd
	s_delay_alu instid0(VALU_DEP_2)
	v_add_co_ci_u32_e64 v26, null, v19, v14, vcc_lo
	v_sub_nc_u32_e32 v11, v11, v135
	s_clause 0x1f
	flat_load_u8 v20, v[25:26] th:TH_LOAD_NT
	flat_load_u8 v27, v[25:26] offset:32 th:TH_LOAD_NT
	flat_load_u8 v32, v[25:26] offset:64 th:TH_LOAD_NT
	;; [unrolled: 1-line block ×31, first 2 shown]
	v_add_co_u32 v25, vcc_lo, v18, v15
	s_wait_alu 0xfffd
	v_add_co_ci_u32_e64 v26, null, v19, v16, vcc_lo
	v_add_co_u32 v13, vcc_lo, v13, v150
	s_wait_alu 0xfffd
	v_add_co_ci_u32_e64 v14, null, 0, v14, vcc_lo
	v_add_co_u32 v15, vcc_lo, v15, v150
	s_wait_alu 0xfffd
	v_add_co_ci_u32_e64 v16, null, 0, v16, vcc_lo
	v_cmp_gt_i32_e32 vcc_lo, 1, v11
	s_wait_loadcnt_dscnt 0x1f1f
	flat_store_b8 v[25:26], v20 th:TH_STORE_NT
	s_wait_loadcnt_dscnt 0x1e1f
	flat_store_b8 v[25:26], v27 offset:32 th:TH_STORE_NT
	s_wait_loadcnt_dscnt 0x1d1f
	flat_store_b8 v[25:26], v32 offset:64 th:TH_STORE_NT
	;; [unrolled: 2-line block ×31, first 2 shown]
	s_wait_alu 0xfffe
	s_or_b32 s15, vcc_lo, s15
	s_wait_alu 0xfffe
	s_and_not1_b32 exec_lo, exec_lo, s15
	s_cbranch_execnz .LBB6_882
; %bb.883:                              ;   in Loop: Header=BB6_754 Depth=3
	s_or_b32 exec_lo, exec_lo, s15
.LBB6_884:                              ;   in Loop: Header=BB6_754 Depth=3
	s_wait_alu 0xfffe
	s_or_b32 exec_lo, exec_lo, s13
	v_lshlrev_b32_e32 v13, 10, v17
	s_delay_alu instid0(VALU_DEP_1)
	v_cmp_ne_u32_e32 vcc_lo, v8, v13
	s_and_b32 exec_lo, exec_lo, vcc_lo
	s_cbranch_execz .LBB6_888
; %bb.885:                              ;   in Loop: Header=BB6_754 Depth=3
	v_ashrrev_i32_e32 v14, 31, v9
	v_lshlrev_b32_e32 v11, 5, v11
	s_delay_alu instid0(VALU_DEP_2) | instskip(NEXT) | instid1(VALU_DEP_1)
	v_lshrrev_b32_e32 v14, 27, v14
	v_add_nc_u32_e32 v14, v9, v14
	s_delay_alu instid0(VALU_DEP_1) | instskip(NEXT) | instid1(VALU_DEP_1)
	v_and_b32_e32 v14, 0xffffffe0, v14
	v_sub_nc_u32_e32 v9, v9, v14
	s_delay_alu instid0(VALU_DEP_1) | instskip(NEXT) | instid1(VALU_DEP_1)
	v_sub_nc_u32_e32 v9, v9, v11
	v_add_nc_u32_e32 v13, v13, v9
	s_delay_alu instid0(VALU_DEP_1) | instskip(NEXT) | instid1(VALU_DEP_1)
	v_sub_nc_u32_e32 v11, v8, v13
	v_cmp_lt_i32_e32 vcc_lo, 0, v11
	s_and_b32 exec_lo, exec_lo, vcc_lo
	s_cbranch_execz .LBB6_888
; %bb.886:                              ;   in Loop: Header=BB6_754 Depth=3
	s_trap 2
	ds_load_b64 v[8:9], v0
	v_add_nc_u32_e32 v10, v13, v10
	s_mov_b32 s15, 0
	s_delay_alu instid0(VALU_DEP_1)
	v_ashrrev_i32_e32 v13, 31, v10
.LBB6_887:                              ;   Parent Loop BB6_47 Depth=1
                                        ;     Parent Loop BB6_751 Depth=2
                                        ;       Parent Loop BB6_754 Depth=3
                                        ; =>      This Inner Loop Header: Depth=4
	s_wait_dscnt 0x0
	v_add_co_u32 v14, vcc_lo, v8, v10
	s_wait_alu 0xfffd
	s_delay_alu instid0(VALU_DEP_2)
	v_add_co_ci_u32_e64 v15, null, v9, v13, vcc_lo
	v_sub_nc_u32_e32 v11, v11, v144
	v_add_co_u32 v10, s13, v10, v144
	flat_load_u8 v16, v[14:15] th:TH_LOAD_NT
	s_wait_alu 0xf1ff
	v_add_co_ci_u32_e64 v13, null, 0, v13, s13
	v_cmp_gt_i32_e32 vcc_lo, 1, v11
	s_wait_alu 0xfffe
	s_or_b32 s15, vcc_lo, s15
	s_wait_loadcnt_dscnt 0x0
	flat_store_b8 v[14:15], v16 th:TH_STORE_NT
	s_wait_alu 0xfffe
	s_and_not1_b32 exec_lo, exec_lo, s15
	s_cbranch_execnz .LBB6_887
.LBB6_888:                              ;   in Loop: Header=BB6_754 Depth=3
	s_wait_alu 0xfffe
	s_or_b32 exec_lo, exec_lo, s14
.LBB6_889:                              ;   in Loop: Header=BB6_754 Depth=3
	v_cmp_lt_i32_e64 s13, 0, v24
	s_and_saveexec_b32 s14, s2
	s_cbranch_execz .LBB6_830
.LBB6_890:                              ;   in Loop: Header=BB6_754 Depth=3
	s_and_saveexec_b32 s15, s3
	s_wait_alu 0xfffe
	s_xor_b32 s15, exec_lo, s15
	s_cbranch_execz .LBB6_905
; %bb.891:                              ;   in Loop: Header=BB6_754 Depth=3
	s_and_saveexec_b32 s16, s6
	s_cbranch_execz .LBB6_904
; %bb.892:                              ;   in Loop: Header=BB6_754 Depth=3
	s_mov_b32 s23, exec_lo
	s_mov_b32 s17, exec_lo
	s_wait_alu 0xfffe
	v_mbcnt_lo_u32_b32 v8, s23, 0
	s_wait_storecnt 0x0
	s_wait_loadcnt_dscnt 0x0
	global_inv scope:SCOPE_DEV
	v_cmpx_eq_u32_e32 0, v8
	s_cbranch_execz .LBB6_894
; %bb.893:                              ;   in Loop: Header=BB6_754 Depth=3
	s_bcnt1_i32_b32 s23, s23
	s_wait_alu 0xfffe
	v_dual_mov_b32 v9, v2 :: v_dual_mov_b32 v8, s23
	s_wait_loadcnt 0x0
	ds_add_u64 v0, v[8:9]
	s_trap 2
.LBB6_894:                              ;   in Loop: Header=BB6_754 Depth=3
	s_or_b32 exec_lo, exec_lo, s17
	s_trap 2
	ds_load_b64 v[8:9], v0
	s_wait_dscnt 0x0
	global_inv scope:SCOPE_SE
	v_add_co_u32 v70, vcc_lo, v70, v135
	s_wait_alu 0xfffd
	v_add_co_ci_u32_e64 v71, null, 0, v71, vcc_lo
	s_mov_b32 s17, exec_lo
	v_cmpx_lt_u64_e64 v[8:9], v[70:71]
	s_cbranch_execz .LBB6_903
; %bb.895:                              ;   in Loop: Header=BB6_754 Depth=3
	s_mov_b32 s23, 0
	s_mov_b32 s26, 0
                                        ; implicit-def: $sgpr24
                                        ; implicit-def: $sgpr25
	s_branch .LBB6_897
.LBB6_896:                              ;   in Loop: Header=BB6_897 Depth=4
	s_wait_alu 0xfffe
	s_or_b32 exec_lo, exec_lo, s28
	s_delay_alu instid0(SALU_CYCLE_1)
	s_and_b32 s27, exec_lo, s29
	s_wait_alu 0xfffe
	s_or_b32 s23, s27, s23
	s_and_not1_b32 s24, s24, exec_lo
	s_and_b32 s27, s25, exec_lo
	s_wait_alu 0xfffe
	s_or_b32 s24, s24, s27
	s_and_not1_b32 exec_lo, exec_lo, s23
	s_cbranch_execz .LBB6_901
.LBB6_897:                              ;   Parent Loop BB6_47 Depth=1
                                        ;     Parent Loop BB6_751 Depth=2
                                        ;       Parent Loop BB6_754 Depth=3
                                        ; =>      This Inner Loop Header: Depth=4
	s_wait_alu 0xfffe
	s_add_co_i32 s26, s26, 1
	s_wait_alu 0xfffe
	s_cmp_lg_u32 s26, 0x2710
	s_cselect_b32 s27, -1, 0
	s_wait_alu 0xfffe
	s_and_b32 vcc_lo, exec_lo, s27
	s_wait_alu 0xfffe
	s_cbranch_vccz .LBB6_899
; %bb.898:                              ;   in Loop: Header=BB6_897 Depth=4
	s_mov_b32 s29, -1
	s_or_b32 s25, s25, exec_lo
	s_and_saveexec_b32 s28, s27
	s_cbranch_execz .LBB6_896
	s_branch .LBB6_900
.LBB6_899:                              ;   in Loop: Header=BB6_897 Depth=4
	s_trap 2
	ds_load_b64 v[8:9], v0
	s_and_not1_b32 s27, s27, exec_lo
	s_mov_b32 s26, 0
	s_wait_loadcnt_dscnt 0x0
	flat_load_b32 v8, v[8:9] scope:SCOPE_SYS
	s_wait_loadcnt_dscnt 0x0
	global_inv scope:SCOPE_SYS
	v_cmp_eq_u32_e32 vcc_lo, 0, v8
	s_and_b32 s28, vcc_lo, exec_lo
	s_wait_alu 0xfffe
	s_or_b32 s27, s27, s28
	s_mov_b32 s29, -1
	s_or_b32 s25, s25, exec_lo
	s_wait_alu 0xfffe
	s_and_saveexec_b32 s28, s27
	s_cbranch_execz .LBB6_896
.LBB6_900:                              ;   in Loop: Header=BB6_897 Depth=4
	s_sleep 1
	s_trap 2
	ds_load_b64 v[8:9], v0
	s_wait_dscnt 0x0
	global_inv scope:SCOPE_SE
	s_wait_alu 0xfffe
	s_and_not1_b32 s25, s25, exec_lo
	v_cmp_ge_u64_e32 vcc_lo, v[8:9], v[70:71]
	s_or_not1_b32 s29, vcc_lo, exec_lo
	s_branch .LBB6_896
.LBB6_901:                              ;   in Loop: Header=BB6_754 Depth=3
	s_or_b32 exec_lo, exec_lo, s23
	s_wait_alu 0xfffe
	s_and_saveexec_b32 s23, s24
	s_wait_alu 0xfffe
	s_xor_b32 s23, exec_lo, s23
	s_cbranch_execz .LBB6_903
; %bb.902:                              ;   in Loop: Header=BB6_754 Depth=3
	ds_store_b32 v0, v145
	s_trap 2
.LBB6_903:                              ;   in Loop: Header=BB6_754 Depth=3
	s_wait_alu 0xfffe
	s_or_b32 exec_lo, exec_lo, s17
	;;#ASMSTART
	s_wakeup
	;;#ASMEND
.LBB6_904:                              ;   in Loop: Header=BB6_754 Depth=3
	s_wait_alu 0xfffe
	s_or_b32 exec_lo, exec_lo, s16
.LBB6_905:                              ;   in Loop: Header=BB6_754 Depth=3
	s_wait_alu 0xfffe
	s_and_not1_saveexec_b32 s15, s15
	s_cbranch_execz .LBB6_907
; %bb.906:                              ;   in Loop: Header=BB6_754 Depth=3
	s_wait_storecnt 0x0
	s_wait_loadcnt_dscnt 0x0
	global_inv scope:SCOPE_DEV
	s_barrier_signal -1
	s_barrier_wait -1
.LBB6_907:                              ;   in Loop: Header=BB6_754 Depth=3
	s_wait_alu 0xfffe
	s_or_b32 exec_lo, exec_lo, s15
	s_delay_alu instid0(SALU_CYCLE_1)
	s_or_b32 exec_lo, exec_lo, s14
                                        ; implicit-def: $vgpr8
	s_and_saveexec_b32 s14, s10
	s_wait_alu 0xfffe
	s_xor_b32 s14, exec_lo, s14
	s_cbranch_execnz .LBB6_831
.LBB6_908:                              ;   in Loop: Header=BB6_754 Depth=3
	s_wait_alu 0xfffe
	s_and_not1_saveexec_b32 s13, s14
	s_cbranch_execz .LBB6_927
.LBB6_909:                              ;   in Loop: Header=BB6_754 Depth=3
	s_and_saveexec_b32 s14, s3
	s_wait_alu 0xfffe
	s_xor_b32 s14, exec_lo, s14
	s_cbranch_execz .LBB6_924
; %bb.910:                              ;   in Loop: Header=BB6_754 Depth=3
	s_and_saveexec_b32 s15, s6
	s_cbranch_execz .LBB6_923
; %bb.911:                              ;   in Loop: Header=BB6_754 Depth=3
	s_mov_b32 s17, exec_lo
	s_mov_b32 s16, exec_lo
	s_wait_alu 0xfffe
	v_mbcnt_lo_u32_b32 v8, s17, 0
	;;#ASMSTART
	s_waitcnt lgkmcnt(0) vmcnt(0)
	;;#ASMEND
	s_delay_alu instid0(VALU_DEP_1)
	v_cmpx_eq_u32_e32 0, v8
	s_cbranch_execz .LBB6_913
; %bb.912:                              ;   in Loop: Header=BB6_754 Depth=3
	s_bcnt1_i32_b32 s17, s17
	s_wait_alu 0xfffe
	v_dual_mov_b32 v9, v2 :: v_dual_mov_b32 v8, s17
	s_wait_storecnt 0x0
	s_wait_loadcnt_dscnt 0x0
	ds_add_u64 v0, v[8:9]
	s_trap 2
.LBB6_913:                              ;   in Loop: Header=BB6_754 Depth=3
	s_or_b32 exec_lo, exec_lo, s16
	s_trap 2
	ds_load_b64 v[8:9], v0
	s_wait_dscnt 0x0
	global_inv scope:SCOPE_SE
	v_add_co_u32 v70, vcc_lo, v70, v135
	s_wait_alu 0xfffd
	v_add_co_ci_u32_e64 v71, null, 0, v71, vcc_lo
	s_mov_b32 s16, exec_lo
	v_cmpx_lt_u64_e64 v[8:9], v[70:71]
	s_cbranch_execz .LBB6_922
; %bb.914:                              ;   in Loop: Header=BB6_754 Depth=3
	s_mov_b32 s17, 0
	s_mov_b32 s25, 0
                                        ; implicit-def: $sgpr23
                                        ; implicit-def: $sgpr24
	s_branch .LBB6_916
.LBB6_915:                              ;   in Loop: Header=BB6_916 Depth=4
	s_wait_alu 0xfffe
	s_or_b32 exec_lo, exec_lo, s27
	s_delay_alu instid0(SALU_CYCLE_1)
	s_and_b32 s26, exec_lo, s28
	s_wait_alu 0xfffe
	s_or_b32 s17, s26, s17
	s_and_not1_b32 s23, s23, exec_lo
	s_and_b32 s26, s24, exec_lo
	s_wait_alu 0xfffe
	s_or_b32 s23, s23, s26
	s_and_not1_b32 exec_lo, exec_lo, s17
	s_cbranch_execz .LBB6_920
.LBB6_916:                              ;   Parent Loop BB6_47 Depth=1
                                        ;     Parent Loop BB6_751 Depth=2
                                        ;       Parent Loop BB6_754 Depth=3
                                        ; =>      This Inner Loop Header: Depth=4
	s_wait_alu 0xfffe
	s_add_co_i32 s25, s25, 1
	s_wait_alu 0xfffe
	s_cmp_lg_u32 s25, 0x2710
	s_cselect_b32 s26, -1, 0
	s_wait_alu 0xfffe
	s_and_b32 vcc_lo, exec_lo, s26
	s_wait_alu 0xfffe
	s_cbranch_vccz .LBB6_918
; %bb.917:                              ;   in Loop: Header=BB6_916 Depth=4
	s_mov_b32 s28, -1
	s_or_b32 s24, s24, exec_lo
	s_and_saveexec_b32 s27, s26
	s_cbranch_execz .LBB6_915
	s_branch .LBB6_919
.LBB6_918:                              ;   in Loop: Header=BB6_916 Depth=4
	s_trap 2
	ds_load_b64 v[8:9], v0
	s_and_not1_b32 s26, s26, exec_lo
	s_mov_b32 s25, 0
	s_wait_storecnt 0x0
	s_wait_loadcnt_dscnt 0x0
	flat_load_b32 v8, v[8:9] scope:SCOPE_SYS
	s_wait_loadcnt_dscnt 0x0
	global_inv scope:SCOPE_SYS
	v_cmp_eq_u32_e32 vcc_lo, 0, v8
	s_and_b32 s27, vcc_lo, exec_lo
	s_wait_alu 0xfffe
	s_or_b32 s26, s26, s27
	s_mov_b32 s28, -1
	s_or_b32 s24, s24, exec_lo
	s_wait_alu 0xfffe
	s_and_saveexec_b32 s27, s26
	s_cbranch_execz .LBB6_915
.LBB6_919:                              ;   in Loop: Header=BB6_916 Depth=4
	s_sleep 1
	s_trap 2
	ds_load_b64 v[8:9], v0
	s_wait_dscnt 0x0
	global_inv scope:SCOPE_SE
	s_wait_alu 0xfffe
	s_and_not1_b32 s24, s24, exec_lo
	v_cmp_ge_u64_e32 vcc_lo, v[8:9], v[70:71]
	s_or_not1_b32 s28, vcc_lo, exec_lo
	s_branch .LBB6_915
.LBB6_920:                              ;   in Loop: Header=BB6_754 Depth=3
	s_or_b32 exec_lo, exec_lo, s17
	s_wait_alu 0xfffe
	s_and_saveexec_b32 s17, s23
	s_wait_alu 0xfffe
	s_xor_b32 s17, exec_lo, s17
	s_cbranch_execz .LBB6_922
; %bb.921:                              ;   in Loop: Header=BB6_754 Depth=3
	ds_store_b32 v0, v145
	s_trap 2
.LBB6_922:                              ;   in Loop: Header=BB6_754 Depth=3
	s_wait_alu 0xfffe
	s_or_b32 exec_lo, exec_lo, s16
	;;#ASMSTART
	s_wakeup
	;;#ASMEND
.LBB6_923:                              ;   in Loop: Header=BB6_754 Depth=3
	s_wait_alu 0xfffe
	s_or_b32 exec_lo, exec_lo, s15
.LBB6_924:                              ;   in Loop: Header=BB6_754 Depth=3
	s_wait_alu 0xfffe
	s_and_not1_saveexec_b32 s14, s14
	s_cbranch_execz .LBB6_926
; %bb.925:                              ;   in Loop: Header=BB6_754 Depth=3
	;;#ASMSTART
	s_waitcnt lgkmcnt(0) vmcnt(0)
	;;#ASMEND
	s_barrier_signal -1
	s_barrier_wait -1
.LBB6_926:                              ;   in Loop: Header=BB6_754 Depth=3
	s_wait_alu 0xfffe
	s_or_b32 exec_lo, exec_lo, s14
	v_and_b32_e32 v8, 16, v30
.LBB6_927:                              ;   in Loop: Header=BB6_754 Depth=3
	s_wait_alu 0xfffe
	s_or_b32 exec_lo, exec_lo, s13
	s_delay_alu instid0(VALU_DEP_1)
	v_cmp_ne_u32_e32 vcc_lo, 0, v8
	s_xor_b32 s13, s4, -1
	s_wait_alu 0xfffe
	s_and_b32 s14, vcc_lo, s13
	s_wait_alu 0xfffe
	s_and_saveexec_b32 s13, s14
	s_cbranch_execz .LBB6_929
; %bb.928:                              ;   in Loop: Header=BB6_754 Depth=3
	global_wb scope:SCOPE_SYS
	s_wait_storecnt 0x0
	s_wait_loadcnt_dscnt 0x0
	flat_store_b32 v[68:69], v145 scope:SCOPE_SYS
.LBB6_929:                              ;   in Loop: Header=BB6_754 Depth=3
	s_wait_alu 0xfffe
	s_or_b32 exec_lo, exec_lo, s13
	v_and_b32_e32 v8, 48, v30
	s_mov_b32 s13, exec_lo
	s_delay_alu instid0(VALU_DEP_1)
	v_cmpx_ne_u32_e32 0, v8
	s_cbranch_execz .LBB6_753
; %bb.930:                              ;   in Loop: Header=BB6_754 Depth=3
	v_add_co_u32 v96, vcc_lo, v96, 2
	s_wait_alu 0xfffd
	v_add_co_ci_u32_e64 v97, null, 0, v97, vcc_lo
	global_wb scope:SCOPE_SYS
	s_wait_storecnt 0x0
	s_wait_loadcnt_dscnt 0x0
	flat_store_b64 v[64:65], v[96:97] scope:SCOPE_SYS
	s_branch .LBB6_753
.LBB6_931:                              ;   in Loop: Header=BB6_751 Depth=2
	s_or_b32 exec_lo, exec_lo, s20
.LBB6_932:                              ;   in Loop: Header=BB6_751 Depth=2
	s_wait_alu 0xfffe
	s_or_b32 exec_lo, exec_lo, s19
	s_delay_alu instid0(SALU_CYCLE_1)
	s_mov_b32 s14, exec_lo
	v_cmpx_gt_i32_e32 2, v10
	s_cbranch_execz .LBB6_1008
; %bb.933:                              ;   in Loop: Header=BB6_751 Depth=2
	v_cmp_eq_u32_e64 s16, 0, v10
	s_mov_b32 s15, 0
	s_branch .LBB6_935
.LBB6_934:                              ;   in Loop: Header=BB6_935 Depth=3
	s_wait_alu 0xfffe
	s_or_b32 exec_lo, exec_lo, s13
	v_add_nc_u32_e32 v21, v12, v21
	s_mov_b32 s16, 0
	s_and_not1_b32 exec_lo, exec_lo, s15
	s_cbranch_execz .LBB6_1007
.LBB6_935:                              ;   Parent Loop BB6_47 Depth=1
                                        ;     Parent Loop BB6_751 Depth=2
                                        ; =>    This Loop Header: Depth=3
                                        ;         Child Loop BB6_941 Depth 4
                                        ;         Child Loop BB6_969 Depth 4
	;; [unrolled: 1-line block ×3, first 2 shown]
	s_delay_alu instid0(VALU_DEP_1) | instskip(SKIP_2) | instid1(VALU_DEP_2)
	v_sub_nc_u32_e32 v8, v3, v21
	v_and_b32_e32 v9, 12, v30
	s_mov_b32 s17, exec_lo
	v_min_i32_e32 v12, v12, v8
	s_delay_alu instid0(VALU_DEP_2)
	v_cmpx_ne_u32_e32 0, v9
	s_cbranch_execz .LBB6_961
; %bb.936:                              ;   in Loop: Header=BB6_935 Depth=3
	v_and_b32_e32 v17, 8, v30
	s_mov_b32 s19, exec_lo
	s_delay_alu instid0(VALU_DEP_1)
	v_add_co_u32 v10, vcc_lo, v80, v17
	s_wait_alu 0xfffd
	v_add_co_ci_u32_e64 v11, null, 0, v81, vcc_lo
	v_add_co_u32 v8, vcc_lo, v96, 2
	s_wait_alu 0xfffd
	v_add_co_ci_u32_e64 v9, null, 0, v97, vcc_lo
	s_delay_alu instid0(VALU_DEP_1)
	v_cmpx_lt_u64_e64 v[10:11], v[8:9]
	s_cbranch_execz .LBB6_948
; %bb.937:                              ;   in Loop: Header=BB6_935 Depth=3
	v_and_b32_e32 v10, 64, v30
	s_mov_b32 s20, 0
	s_mov_b32 s24, 0
                                        ; implicit-def: $sgpr21
                                        ; implicit-def: $sgpr22
                                        ; implicit-def: $sgpr23
	s_delay_alu instid0(VALU_DEP_1)
	v_cmp_eq_u32_e32 vcc_lo, 0, v10
	s_branch .LBB6_941
.LBB6_938:                              ;   in Loop: Header=BB6_941 Depth=4
	v_add_co_u32 v13, s13, v80, v17
	s_wait_alu 0xf1ff
	v_add_co_ci_u32_e64 v14, null, 0, v81, s13
	s_or_b32 s27, s27, exec_lo
	v_cmp_ge_u64_e64 s13, v[13:14], v[8:9]
	s_or_not1_b32 s26, s13, exec_lo
.LBB6_939:                              ;   in Loop: Header=BB6_941 Depth=4
	s_wait_alu 0xfffe
	s_or_b32 exec_lo, exec_lo, s29
	s_delay_alu instid0(SALU_CYCLE_1)
	s_and_not1_b32 s13, s23, exec_lo
	s_and_b32 s23, s27, exec_lo
	s_and_not1_b32 s22, s22, exec_lo
	s_and_b32 s26, s26, exec_lo
	s_wait_alu 0xfffe
	s_or_b32 s23, s13, s23
	s_or_b32 s22, s22, s26
.LBB6_940:                              ;   in Loop: Header=BB6_941 Depth=4
	s_wait_alu 0xfffe
	s_or_b32 exec_lo, exec_lo, s25
	s_delay_alu instid0(SALU_CYCLE_1)
	s_and_b32 s13, exec_lo, s22
	s_wait_alu 0xfffe
	s_or_b32 s20, s13, s20
	s_and_not1_b32 s13, s21, exec_lo
	s_and_b32 s21, s23, exec_lo
	s_wait_alu 0xfffe
	s_or_b32 s21, s13, s21
	s_and_not1_b32 exec_lo, exec_lo, s20
	s_cbranch_execz .LBB6_945
.LBB6_941:                              ;   Parent Loop BB6_47 Depth=1
                                        ;     Parent Loop BB6_751 Depth=2
                                        ;       Parent Loop BB6_935 Depth=3
                                        ; =>      This Inner Loop Header: Depth=4
	s_sleep 1
	flat_load_b64 v[80:81], v[64:65] scope:SCOPE_SYS
	s_wait_loadcnt_dscnt 0x0
	global_inv scope:SCOPE_SYS
	s_or_b32 s23, s23, exec_lo
	s_or_b32 s22, s22, exec_lo
                                        ; implicit-def: $vgpr10
	s_and_saveexec_b32 s25, vcc_lo
	s_cbranch_execz .LBB6_940
; %bb.942:                              ;   in Loop: Header=BB6_941 Depth=4
	s_wait_alu 0xfffe
	s_cmp_lt_i32 s24, 0x270f
	s_mov_b32 s26, -1
	s_cselect_b32 s28, -1, 0
	s_cmp_gt_i32 s24, 0x270e
	s_cbranch_scc0 .LBB6_944
; %bb.943:                              ;   in Loop: Header=BB6_941 Depth=4
	s_trap 2
	ds_load_b64 v[10:11], v0
	s_wait_alu 0xfffe
	s_and_not1_b32 s24, s28, exec_lo
	s_mov_b32 s27, 0
	s_wait_storecnt 0x0
	s_wait_loadcnt_dscnt 0x0
	flat_load_b32 v10, v[10:11] scope:SCOPE_SYS
	s_wait_loadcnt_dscnt 0x0
	global_inv scope:SCOPE_SYS
	v_cmp_eq_u32_e64 s13, 0, v10
	s_and_b32 s13, s13, exec_lo
	s_wait_alu 0xfffe
	s_or_b32 s28, s24, s13
	s_mov_b32 s24, 0
	s_wait_alu 0xfffe
	s_and_saveexec_b32 s29, s28
	s_cbranch_execz .LBB6_939
	s_branch .LBB6_938
.LBB6_944:                              ;   in Loop: Header=BB6_941 Depth=4
	s_add_co_i32 s24, s24, 1
	s_mov_b32 s27, -1
                                        ; implicit-def: $vgpr10
	s_wait_alu 0xfffe
	s_and_saveexec_b32 s29, s28
	s_cbranch_execz .LBB6_939
	s_branch .LBB6_938
.LBB6_945:                              ;   in Loop: Header=BB6_935 Depth=3
	s_or_b32 exec_lo, exec_lo, s20
	s_wait_alu 0xfffe
	s_xor_b32 s13, s21, -1
	s_wait_alu 0xfffe
	s_and_saveexec_b32 s20, s13
	s_wait_alu 0xfffe
	s_xor_b32 s13, exec_lo, s20
	s_cbranch_execz .LBB6_947
; %bb.946:                              ;   in Loop: Header=BB6_935 Depth=3
	v_or_b32_e32 v30, 64, v30
	s_wait_loadcnt 0x0
	s_wait_storecnt 0x0
	ds_store_b32 v0, v10
	s_trap 2
.LBB6_947:                              ;   in Loop: Header=BB6_935 Depth=3
	s_wait_alu 0xfffe
	s_or_b32 exec_lo, exec_lo, s13
.LBB6_948:                              ;   in Loop: Header=BB6_935 Depth=3
	s_wait_alu 0xfffe
	s_or_b32 exec_lo, exec_lo, s19
	v_and_b32_e32 v10, 0x108, v30
	;;#ASMSTART
	s_wakeup
	;;#ASMEND
	s_delay_alu instid0(VALU_DEP_1)
	v_cmp_ne_u32_e32 vcc_lo, 0x108, v10
                                        ; implicit-def: $vgpr10_vgpr11
	s_and_saveexec_b32 s13, vcc_lo
	s_wait_alu 0xfffe
	s_xor_b32 s13, exec_lo, s13
; %bb.949:                              ;   in Loop: Header=BB6_935 Depth=3
	v_dual_mov_b32 v11, v2 :: v_dual_and_b32 v10, 7, v96
                                        ; implicit-def: $vgpr96_vgpr97
; %bb.950:                              ;   in Loop: Header=BB6_935 Depth=3
	s_wait_alu 0xfffe
	s_and_not1_saveexec_b32 s13, s13
	s_cbranch_execz .LBB6_952
; %bb.951:                              ;   in Loop: Header=BB6_935 Depth=3
	v_dual_mov_b32 v11, v2 :: v_dual_and_b32 v10, 7, v96
	v_ashrrev_i32_e32 v13, 31, v12
	s_delay_alu instid0(VALU_DEP_2)
	v_mad_co_u64_u32 v[14:15], null, v10, 24, v[6:7]
	flat_store_b64 v[14:15], v[12:13] offset:8
.LBB6_952:                              ;   in Loop: Header=BB6_935 Depth=3
	s_wait_alu 0xfffe
	s_or_b32 exec_lo, exec_lo, s13
	v_and_b32_e32 v13, 0x100, v30
	s_mov_b32 s13, -1
	s_delay_alu instid0(VALU_DEP_1)
	v_cmp_ne_u32_e32 vcc_lo, 0, v13
                                        ; implicit-def: $vgpr13_vgpr14
	s_and_saveexec_b32 s19, vcc_lo
	s_cbranch_execz .LBB6_956
; %bb.953:                              ;   in Loop: Header=BB6_935 Depth=3
	v_mad_co_u64_u32 v[15:16], null, v10, 24, v[6:7]
	s_delay_alu instid0(VALU_DEP_1) | instskip(NEXT) | instid1(VALU_DEP_1)
	v_mov_b32_e32 v13, v16
	v_mad_co_u64_u32 v[13:14], null, v11, 24, v[13:14]
	s_delay_alu instid0(VALU_DEP_1)
	v_mov_b32_e32 v16, v13
	flat_load_b32 v13, v[15:16]
	s_wait_loadcnt_dscnt 0x0
	v_cmp_eq_u32_e64 s13, 1, v13
	v_cmp_ne_u32_e32 vcc_lo, 1, v13
                                        ; implicit-def: $vgpr13_vgpr14
	s_wait_alu 0xfffe
	s_and_saveexec_b32 s20, s13
	s_cbranch_execz .LBB6_955
; %bb.954:                              ;   in Loop: Header=BB6_935 Depth=3
	flat_load_b32 v13, v[15:16] offset:4 scope:SCOPE_SYS
	s_wait_loadcnt_dscnt 0x0
	v_ashrrev_i32_e32 v14, 31, v13
.LBB6_955:                              ;   in Loop: Header=BB6_935 Depth=3
	s_wait_alu 0xfffe
	s_or_b32 exec_lo, exec_lo, s20
	s_delay_alu instid0(SALU_CYCLE_1)
	s_or_not1_b32 s13, vcc_lo, exec_lo
.LBB6_956:                              ;   in Loop: Header=BB6_935 Depth=3
	s_wait_alu 0xfffe
	s_or_b32 exec_lo, exec_lo, s19
	s_and_saveexec_b32 s19, s13
; %bb.957:                              ;   in Loop: Header=BB6_935 Depth=3
	v_mul_lo_u32 v11, v11, v132
	v_mul_lo_u32 v15, v10, v134
	v_mad_co_u64_u32 v[13:14], null, v10, v132, 0
	s_delay_alu instid0(VALU_DEP_1)
	v_add3_u32 v14, v14, v15, v11
; %bb.958:                              ;   in Loop: Header=BB6_935 Depth=3
	s_wait_alu 0xfffe
	s_or_b32 exec_lo, exec_lo, s19
	v_cmp_eq_u32_e32 vcc_lo, 0, v17
	v_and_b32_e32 v16, 0x2000, v30
	s_mov_b32 s13, exec_lo
	s_wait_alu 0xfffd
	v_cndmask_b32_e32 v15, 0xd0, v147, vcc_lo
	v_add_co_u32 v10, vcc_lo, v66, v13
	s_wait_alu 0xfffd
	v_add_co_ci_u32_e64 v11, null, v67, v14, vcc_lo
	s_delay_alu instid0(VALU_DEP_3)
	v_add_nc_u32_e32 v13, v0, v15
	ds_store_b64 v13, v[10:11] offset:584
	v_cmpx_ne_u32_e32 0, v16
	s_cbranch_execz .LBB6_960
; %bb.959:                              ;   in Loop: Header=BB6_935 Depth=3
	ds_load_b64 v[10:11], v0 offset:872
	s_wait_dscnt 0x0
	v_add_co_u32 v10, vcc_lo, v10, 1
	s_wait_alu 0xfffd
	v_add_co_ci_u32_e64 v11, null, 0, v11, vcc_lo
	ds_store_b64 v0, v[10:11] offset:872
.LBB6_960:                              ;   in Loop: Header=BB6_935 Depth=3
	s_wait_alu 0xfffe
	s_or_b32 exec_lo, exec_lo, s13
	v_dual_mov_b32 v97, v9 :: v_dual_mov_b32 v96, v8
.LBB6_961:                              ;   in Loop: Header=BB6_935 Depth=3
	s_wait_alu 0xfffe
	s_or_b32 exec_lo, exec_lo, s17
	s_xor_b32 s13, s16, -1
	s_wait_alu 0xfffe
	s_and_b32 s13, exec_lo, s13
	s_wait_alu 0xfffe
	s_or_b32 s15, s13, s15
	s_and_saveexec_b32 s13, s2
	s_cbranch_execz .LBB6_980
; %bb.962:                              ;   in Loop: Header=BB6_935 Depth=3
	s_and_saveexec_b32 s16, s3
	s_wait_alu 0xfffe
	s_xor_b32 s16, exec_lo, s16
	s_cbranch_execz .LBB6_977
; %bb.963:                              ;   in Loop: Header=BB6_935 Depth=3
	s_and_saveexec_b32 s17, s6
	s_cbranch_execz .LBB6_976
; %bb.964:                              ;   in Loop: Header=BB6_935 Depth=3
	s_mov_b32 s20, exec_lo
	s_mov_b32 s19, exec_lo
	s_wait_alu 0xfffe
	v_mbcnt_lo_u32_b32 v8, s20, 0
	s_wait_storecnt 0x0
	s_wait_loadcnt_dscnt 0x0
	global_inv scope:SCOPE_DEV
	v_cmpx_eq_u32_e32 0, v8
	s_cbranch_execz .LBB6_966
; %bb.965:                              ;   in Loop: Header=BB6_935 Depth=3
	s_bcnt1_i32_b32 s20, s20
	s_wait_alu 0xfffe
	v_dual_mov_b32 v9, v2 :: v_dual_mov_b32 v8, s20
	s_wait_loadcnt 0x0
	ds_add_u64 v0, v[8:9]
	s_trap 2
.LBB6_966:                              ;   in Loop: Header=BB6_935 Depth=3
	s_or_b32 exec_lo, exec_lo, s19
	s_trap 2
	ds_load_b64 v[8:9], v0
	s_wait_dscnt 0x0
	global_inv scope:SCOPE_SE
	v_add_co_u32 v70, vcc_lo, v70, v135
	s_wait_alu 0xfffd
	v_add_co_ci_u32_e64 v71, null, 0, v71, vcc_lo
	s_mov_b32 s19, exec_lo
	v_cmpx_lt_u64_e64 v[8:9], v[70:71]
	s_cbranch_execz .LBB6_975
; %bb.967:                              ;   in Loop: Header=BB6_935 Depth=3
	s_mov_b32 s20, 0
	s_mov_b32 s23, 0
                                        ; implicit-def: $sgpr21
                                        ; implicit-def: $sgpr22
	s_branch .LBB6_969
.LBB6_968:                              ;   in Loop: Header=BB6_969 Depth=4
	s_wait_alu 0xfffe
	s_or_b32 exec_lo, exec_lo, s25
	s_delay_alu instid0(SALU_CYCLE_1)
	s_and_b32 s24, exec_lo, s26
	s_wait_alu 0xfffe
	s_or_b32 s20, s24, s20
	s_and_not1_b32 s21, s21, exec_lo
	s_and_b32 s24, s22, exec_lo
	s_wait_alu 0xfffe
	s_or_b32 s21, s21, s24
	s_and_not1_b32 exec_lo, exec_lo, s20
	s_cbranch_execz .LBB6_973
.LBB6_969:                              ;   Parent Loop BB6_47 Depth=1
                                        ;     Parent Loop BB6_751 Depth=2
                                        ;       Parent Loop BB6_935 Depth=3
                                        ; =>      This Inner Loop Header: Depth=4
	s_wait_alu 0xfffe
	s_add_co_i32 s23, s23, 1
	s_wait_alu 0xfffe
	s_cmp_lg_u32 s23, 0x2710
	s_cselect_b32 s24, -1, 0
	s_wait_alu 0xfffe
	s_and_b32 vcc_lo, exec_lo, s24
	s_wait_alu 0xfffe
	s_cbranch_vccz .LBB6_971
; %bb.970:                              ;   in Loop: Header=BB6_969 Depth=4
	s_mov_b32 s26, -1
	s_or_b32 s22, s22, exec_lo
	s_and_saveexec_b32 s25, s24
	s_cbranch_execz .LBB6_968
	s_branch .LBB6_972
.LBB6_971:                              ;   in Loop: Header=BB6_969 Depth=4
	s_trap 2
	ds_load_b64 v[8:9], v0
	s_and_not1_b32 s24, s24, exec_lo
	s_mov_b32 s23, 0
	s_wait_loadcnt_dscnt 0x0
	flat_load_b32 v8, v[8:9] scope:SCOPE_SYS
	s_wait_loadcnt_dscnt 0x0
	global_inv scope:SCOPE_SYS
	v_cmp_eq_u32_e32 vcc_lo, 0, v8
	s_and_b32 s25, vcc_lo, exec_lo
	s_wait_alu 0xfffe
	s_or_b32 s24, s24, s25
	s_mov_b32 s26, -1
	s_or_b32 s22, s22, exec_lo
	s_wait_alu 0xfffe
	s_and_saveexec_b32 s25, s24
	s_cbranch_execz .LBB6_968
.LBB6_972:                              ;   in Loop: Header=BB6_969 Depth=4
	s_sleep 1
	s_trap 2
	ds_load_b64 v[8:9], v0
	s_wait_dscnt 0x0
	global_inv scope:SCOPE_SE
	s_wait_alu 0xfffe
	s_and_not1_b32 s22, s22, exec_lo
	v_cmp_ge_u64_e32 vcc_lo, v[8:9], v[70:71]
	s_or_not1_b32 s26, vcc_lo, exec_lo
	s_branch .LBB6_968
.LBB6_973:                              ;   in Loop: Header=BB6_935 Depth=3
	s_or_b32 exec_lo, exec_lo, s20
	s_wait_alu 0xfffe
	s_and_saveexec_b32 s20, s21
	s_wait_alu 0xfffe
	s_xor_b32 s20, exec_lo, s20
	s_cbranch_execz .LBB6_975
; %bb.974:                              ;   in Loop: Header=BB6_935 Depth=3
	ds_store_b32 v0, v145
	s_trap 2
.LBB6_975:                              ;   in Loop: Header=BB6_935 Depth=3
	s_wait_alu 0xfffe
	s_or_b32 exec_lo, exec_lo, s19
	;;#ASMSTART
	s_wakeup
	;;#ASMEND
.LBB6_976:                              ;   in Loop: Header=BB6_935 Depth=3
	s_wait_alu 0xfffe
	s_or_b32 exec_lo, exec_lo, s17
.LBB6_977:                              ;   in Loop: Header=BB6_935 Depth=3
	s_wait_alu 0xfffe
	s_and_not1_saveexec_b32 s16, s16
	s_cbranch_execz .LBB6_979
; %bb.978:                              ;   in Loop: Header=BB6_935 Depth=3
	s_wait_storecnt 0x0
	s_wait_loadcnt_dscnt 0x0
	global_inv scope:SCOPE_DEV
	s_barrier_signal -1
	s_barrier_wait -1
.LBB6_979:                              ;   in Loop: Header=BB6_935 Depth=3
	s_wait_alu 0xfffe
	s_or_b32 exec_lo, exec_lo, s16
.LBB6_980:                              ;   in Loop: Header=BB6_935 Depth=3
	s_wait_alu 0xfffe
	s_or_b32 exec_lo, exec_lo, s13
                                        ; implicit-def: $vgpr8
	s_and_saveexec_b32 s13, s10
	s_wait_alu 0xfffe
	s_xor_b32 s16, exec_lo, s13
	s_cbranch_execz .LBB6_984
; %bb.981:                              ;   in Loop: Header=BB6_935 Depth=3
	s_trap 2
	ds_load_b32 v8, v0
	v_cmp_lt_i32_e32 vcc_lo, 0, v12
	s_wait_dscnt 0x0
	v_readfirstlane_b32 s13, v8
	v_and_b32_e32 v8, 16, v30
	s_cmp_eq_u32 s13, 0
	s_delay_alu instid0(VALU_DEP_1)
	v_cmp_ne_u32_e64 s13, 0, v8
	s_cselect_b32 s17, -1, 0
	v_and_b32_e32 v8, 16, v30
	s_wait_alu 0xfffe
	s_and_b32 s17, vcc_lo, s17
	s_wait_alu 0xfffe
	s_and_b32 s17, s13, s17
	s_wait_alu 0xfffe
	s_and_saveexec_b32 s13, s17
	s_cbranch_execz .LBB6_983
; %bb.982:                              ;   in Loop: Header=BB6_935 Depth=3
	v_mov_b32_e32 v8, 1
	global_wb scope:SCOPE_SYS
	s_wait_loadcnt 0x0
	s_wait_storecnt 0x0
	global_inv scope:SCOPE_SYS
.LBB6_983:                              ;   in Loop: Header=BB6_935 Depth=3
	s_wait_alu 0xfffe
	s_or_b32 exec_lo, exec_lo, s13
	s_and_not1_saveexec_b32 s13, s16
	s_cbranch_execz .LBB6_1003
	s_branch .LBB6_985
.LBB6_984:                              ;   in Loop: Header=BB6_935 Depth=3
	s_wait_alu 0xfffe
	s_and_not1_saveexec_b32 s13, s16
	s_cbranch_execz .LBB6_1003
.LBB6_985:                              ;   in Loop: Header=BB6_935 Depth=3
	s_and_saveexec_b32 s16, s3
	s_wait_alu 0xfffe
	s_xor_b32 s16, exec_lo, s16
	s_cbranch_execz .LBB6_1000
; %bb.986:                              ;   in Loop: Header=BB6_935 Depth=3
	s_and_saveexec_b32 s17, s6
	s_cbranch_execz .LBB6_999
; %bb.987:                              ;   in Loop: Header=BB6_935 Depth=3
	s_mov_b32 s20, exec_lo
	s_mov_b32 s19, exec_lo
	s_wait_alu 0xfffe
	v_mbcnt_lo_u32_b32 v8, s20, 0
	;;#ASMSTART
	s_waitcnt lgkmcnt(0) vmcnt(0)
	;;#ASMEND
	s_delay_alu instid0(VALU_DEP_1)
	v_cmpx_eq_u32_e32 0, v8
	s_cbranch_execz .LBB6_989
; %bb.988:                              ;   in Loop: Header=BB6_935 Depth=3
	s_bcnt1_i32_b32 s20, s20
	s_wait_alu 0xfffe
	v_dual_mov_b32 v9, v2 :: v_dual_mov_b32 v8, s20
	s_wait_storecnt 0x0
	s_wait_loadcnt_dscnt 0x0
	ds_add_u64 v0, v[8:9]
	s_trap 2
.LBB6_989:                              ;   in Loop: Header=BB6_935 Depth=3
	s_or_b32 exec_lo, exec_lo, s19
	s_trap 2
	ds_load_b64 v[8:9], v0
	s_wait_dscnt 0x0
	global_inv scope:SCOPE_SE
	v_add_co_u32 v70, vcc_lo, v70, v135
	s_wait_alu 0xfffd
	v_add_co_ci_u32_e64 v71, null, 0, v71, vcc_lo
	s_mov_b32 s19, exec_lo
	v_cmpx_lt_u64_e64 v[8:9], v[70:71]
	s_cbranch_execz .LBB6_998
; %bb.990:                              ;   in Loop: Header=BB6_935 Depth=3
	s_mov_b32 s20, 0
	s_mov_b32 s23, 0
                                        ; implicit-def: $sgpr21
                                        ; implicit-def: $sgpr22
	s_branch .LBB6_992
.LBB6_991:                              ;   in Loop: Header=BB6_992 Depth=4
	s_wait_alu 0xfffe
	s_or_b32 exec_lo, exec_lo, s25
	s_delay_alu instid0(SALU_CYCLE_1)
	s_and_b32 s24, exec_lo, s26
	s_wait_alu 0xfffe
	s_or_b32 s20, s24, s20
	s_and_not1_b32 s21, s21, exec_lo
	s_and_b32 s24, s22, exec_lo
	s_wait_alu 0xfffe
	s_or_b32 s21, s21, s24
	s_and_not1_b32 exec_lo, exec_lo, s20
	s_cbranch_execz .LBB6_996
.LBB6_992:                              ;   Parent Loop BB6_47 Depth=1
                                        ;     Parent Loop BB6_751 Depth=2
                                        ;       Parent Loop BB6_935 Depth=3
                                        ; =>      This Inner Loop Header: Depth=4
	s_wait_alu 0xfffe
	s_add_co_i32 s23, s23, 1
	s_wait_alu 0xfffe
	s_cmp_lg_u32 s23, 0x2710
	s_cselect_b32 s24, -1, 0
	s_wait_alu 0xfffe
	s_and_b32 vcc_lo, exec_lo, s24
	s_wait_alu 0xfffe
	s_cbranch_vccz .LBB6_994
; %bb.993:                              ;   in Loop: Header=BB6_992 Depth=4
	s_mov_b32 s26, -1
	s_or_b32 s22, s22, exec_lo
	s_and_saveexec_b32 s25, s24
	s_cbranch_execz .LBB6_991
	s_branch .LBB6_995
.LBB6_994:                              ;   in Loop: Header=BB6_992 Depth=4
	s_trap 2
	ds_load_b64 v[8:9], v0
	s_and_not1_b32 s24, s24, exec_lo
	s_mov_b32 s23, 0
	s_wait_storecnt 0x0
	s_wait_loadcnt_dscnt 0x0
	flat_load_b32 v8, v[8:9] scope:SCOPE_SYS
	s_wait_loadcnt_dscnt 0x0
	global_inv scope:SCOPE_SYS
	v_cmp_eq_u32_e32 vcc_lo, 0, v8
	s_and_b32 s25, vcc_lo, exec_lo
	s_wait_alu 0xfffe
	s_or_b32 s24, s24, s25
	s_mov_b32 s26, -1
	s_or_b32 s22, s22, exec_lo
	s_wait_alu 0xfffe
	s_and_saveexec_b32 s25, s24
	s_cbranch_execz .LBB6_991
.LBB6_995:                              ;   in Loop: Header=BB6_992 Depth=4
	s_sleep 1
	s_trap 2
	ds_load_b64 v[8:9], v0
	s_wait_dscnt 0x0
	global_inv scope:SCOPE_SE
	s_wait_alu 0xfffe
	s_and_not1_b32 s22, s22, exec_lo
	v_cmp_ge_u64_e32 vcc_lo, v[8:9], v[70:71]
	s_or_not1_b32 s26, vcc_lo, exec_lo
	s_branch .LBB6_991
.LBB6_996:                              ;   in Loop: Header=BB6_935 Depth=3
	s_or_b32 exec_lo, exec_lo, s20
	s_wait_alu 0xfffe
	s_and_saveexec_b32 s20, s21
	s_wait_alu 0xfffe
	s_xor_b32 s20, exec_lo, s20
	s_cbranch_execz .LBB6_998
; %bb.997:                              ;   in Loop: Header=BB6_935 Depth=3
	ds_store_b32 v0, v145
	s_trap 2
.LBB6_998:                              ;   in Loop: Header=BB6_935 Depth=3
	s_wait_alu 0xfffe
	s_or_b32 exec_lo, exec_lo, s19
	;;#ASMSTART
	s_wakeup
	;;#ASMEND
.LBB6_999:                              ;   in Loop: Header=BB6_935 Depth=3
	s_wait_alu 0xfffe
	s_or_b32 exec_lo, exec_lo, s17
.LBB6_1000:                             ;   in Loop: Header=BB6_935 Depth=3
	s_wait_alu 0xfffe
	s_and_not1_saveexec_b32 s16, s16
	s_cbranch_execz .LBB6_1002
; %bb.1001:                             ;   in Loop: Header=BB6_935 Depth=3
	;;#ASMSTART
	s_waitcnt lgkmcnt(0) vmcnt(0)
	;;#ASMEND
	s_barrier_signal -1
	s_barrier_wait -1
.LBB6_1002:                             ;   in Loop: Header=BB6_935 Depth=3
	s_wait_alu 0xfffe
	s_or_b32 exec_lo, exec_lo, s16
	v_and_b32_e32 v8, 16, v30
.LBB6_1003:                             ;   in Loop: Header=BB6_935 Depth=3
	s_wait_alu 0xfffe
	s_or_b32 exec_lo, exec_lo, s13
	s_delay_alu instid0(VALU_DEP_1)
	v_cmp_ne_u32_e32 vcc_lo, 0, v8
	s_xor_b32 s13, s4, -1
	s_wait_alu 0xfffe
	s_and_b32 s16, vcc_lo, s13
	s_wait_alu 0xfffe
	s_and_saveexec_b32 s13, s16
	s_cbranch_execz .LBB6_1005
; %bb.1004:                             ;   in Loop: Header=BB6_935 Depth=3
	global_wb scope:SCOPE_SYS
	s_wait_storecnt 0x0
	s_wait_loadcnt_dscnt 0x0
	flat_store_b32 v[68:69], v145 scope:SCOPE_SYS
.LBB6_1005:                             ;   in Loop: Header=BB6_935 Depth=3
	s_wait_alu 0xfffe
	s_or_b32 exec_lo, exec_lo, s13
	v_and_b32_e32 v8, 48, v30
	s_mov_b32 s13, exec_lo
	s_delay_alu instid0(VALU_DEP_1)
	v_cmpx_ne_u32_e32 0, v8
	s_cbranch_execz .LBB6_934
; %bb.1006:                             ;   in Loop: Header=BB6_935 Depth=3
	v_add_co_u32 v96, vcc_lo, v96, 2
	s_wait_alu 0xfffd
	v_add_co_ci_u32_e64 v97, null, 0, v97, vcc_lo
	global_wb scope:SCOPE_SYS
	s_wait_storecnt 0x0
	s_wait_loadcnt_dscnt 0x0
	flat_store_b64 v[64:65], v[96:97] scope:SCOPE_SYS
	s_branch .LBB6_934
.LBB6_1007:                             ;   in Loop: Header=BB6_751 Depth=2
	s_or_b32 exec_lo, exec_lo, s15
.LBB6_1008:                             ;   in Loop: Header=BB6_751 Depth=2
	s_wait_alu 0xfffe
	s_or_b32 exec_lo, exec_lo, s14
	s_add_co_i32 s13, s18, 1
	s_cmp_eq_u32 s18, s95
	s_cbranch_scc1 .LBB6_1010
; %bb.1009:                             ;   in Loop: Header=BB6_751 Depth=2
	s_wait_alu 0xfffe
	s_mov_b32 s18, s13
	s_branch .LBB6_751
.LBB6_1010:                             ;   in Loop: Header=BB6_47 Depth=1
	v_mul_lo_u32 v3, v87, s30
	v_mul_lo_u32 v10, v86, s35
	v_mad_co_u64_u32 v[8:9], null, v86, s30, 0
	v_mov_b32_e32 v17, 0
	s_delay_alu instid0(VALU_DEP_2) | instskip(NEXT) | instid1(VALU_DEP_3)
	v_add3_u32 v9, v9, v10, v3
	v_sub_co_u32 v10, vcc_lo, v98, v8
	s_wait_alu 0xfffd
	s_delay_alu instid0(VALU_DEP_2) | instskip(NEXT) | instid1(VALU_DEP_1)
	v_sub_co_ci_u32_e64 v11, null, v99, v9, vcc_lo
	v_cmp_lt_i64_e32 vcc_lo, v[86:87], v[10:11]
	s_wait_alu 0xfffd
	v_cndmask_b32_e32 v11, v10, v86, vcc_lo
	s_delay_alu instid0(VALU_DEP_1) | instskip(NEXT) | instid1(VALU_DEP_1)
	v_max_i32_e32 v3, 0, v11
	v_add_nc_u32_e32 v10, 31, v3
	v_cmp_lt_i32_e32 vcc_lo, 0, v11
	s_delay_alu instid0(VALU_DEP_2) | instskip(SKIP_1) | instid1(VALU_DEP_1)
	v_lshrrev_b32_e32 v10, 1, v10
	s_and_b32 s13, vcc_hi, vcc_lo
	v_and_b32_e32 v12, 0x3ffffff0, v10
	v_mov_b32_e32 v10, 0
	s_delay_alu instid0(VALU_DEP_2)
	v_max_i32_e32 v16, s92, v12
	s_wait_alu 0xfffe
	s_and_saveexec_b32 s15, s13
	s_cbranch_execz .LBB6_1150
; %bb.1011:                             ;   in Loop: Header=BB6_47 Depth=1
	v_add_co_u32 v18, vcc_lo, v8, v182
	s_wait_alu 0xfffd
	v_add_co_ci_u32_e64 v19, null, v9, v183, vcc_lo
	v_mov_b32_e32 v17, 0
	s_mov_b32 s18, 1
	s_mov_b32 s17, -1
	s_mov_b32 s16, 0
	s_branch .LBB6_1013
.LBB6_1012:                             ;   in Loop: Header=BB6_1013 Depth=2
	s_wait_alu 0xfffe
	s_or_b32 exec_lo, exec_lo, s13
	v_dual_mov_b32 v10, s18 :: v_dual_add_nc_u32 v17, v16, v17
	s_xor_b32 s13, s17, -1
	s_mov_b32 s17, 0
	s_mov_b32 s18, 2
	s_delay_alu instid0(VALU_DEP_1)
	v_cmp_ge_i32_e32 vcc_lo, v17, v3
	s_wait_alu 0xfffe
	s_or_b32 s13, s13, vcc_lo
	s_wait_alu 0xfffe
	s_and_b32 s13, exec_lo, s13
	s_wait_alu 0xfffe
	s_or_b32 s16, s13, s16
	s_wait_alu 0xfffe
	s_and_not1_b32 exec_lo, exec_lo, s16
	s_cbranch_execz .LBB6_1149
.LBB6_1013:                             ;   Parent Loop BB6_47 Depth=1
                                        ; =>  This Loop Header: Depth=2
                                        ;       Child Loop BB6_1021 Depth 3
                                        ;       Child Loop BB6_1045 Depth 3
	;; [unrolled: 1-line block ×9, first 2 shown]
	s_and_saveexec_b32 s14, s0
	s_cbranch_execz .LBB6_1015
; %bb.1014:                             ;   in Loop: Header=BB6_1013 Depth=2
	s_trap 2
	ds_load_b128 v[8:11], v0
	v_ashrrev_i32_e32 v12, 31, v17
	s_wait_dscnt 0x0
	v_add_co_u32 v13, vcc_lo, v10, v18
	s_wait_alu 0xfffd
	v_add_co_ci_u32_e64 v14, null, v11, v19, vcc_lo
	v_add_co_u32 v8, vcc_lo, v8, v18
	s_wait_alu 0xfffd
	v_add_co_ci_u32_e64 v9, null, v9, v19, vcc_lo
	;; [unrolled: 3-line block ×3, first 2 shown]
	v_cmp_ne_u64_e32 vcc_lo, 0, v[10:11]
	v_add_co_u32 v8, s13, v8, v17
	s_wait_alu 0xf1ff
	v_add_co_ci_u32_e64 v9, null, v9, v12, s13
	s_wait_alu 0xfffd
	v_dual_cndmask_b32 v11, 0, v14 :: v_dual_cndmask_b32 v10, 0, v13
	ds_store_b64 v0, v[8:9]
	ds_store_b64 v0, v[10:11]
.LBB6_1015:                             ;   in Loop: Header=BB6_1013 Depth=2
	s_wait_alu 0xfffe
	s_or_b32 exec_lo, exec_lo, s14
	v_and_b32_e32 v8, 4, v30
	s_mov_b32 s14, exec_lo
	s_delay_alu instid0(VALU_DEP_1)
	v_cmpx_ne_u32_e32 0, v8
	s_cbranch_execz .LBB6_1037
; %bb.1016:                             ;   in Loop: Header=BB6_1013 Depth=2
	v_add_co_u32 v8, vcc_lo, v96, 2
	s_wait_alu 0xfffd
	v_add_co_ci_u32_e64 v9, null, 0, v97, vcc_lo
	s_mov_b32 s19, exec_lo
	v_cmpx_lt_u64_e64 v[80:81], v[8:9]
	s_cbranch_execz .LBB6_1028
; %bb.1017:                             ;   in Loop: Header=BB6_1013 Depth=2
	v_and_b32_e32 v10, 64, v30
	s_mov_b32 s20, 0
	s_mov_b32 s24, 0
                                        ; implicit-def: $sgpr21
                                        ; implicit-def: $sgpr22
                                        ; implicit-def: $sgpr23
	s_delay_alu instid0(VALU_DEP_1)
	v_cmp_eq_u32_e32 vcc_lo, 0, v10
	s_branch .LBB6_1021
.LBB6_1018:                             ;   in Loop: Header=BB6_1021 Depth=3
	v_cmp_ge_u64_e64 s13, v[80:81], v[8:9]
	s_or_b32 s27, s27, exec_lo
	s_or_not1_b32 s26, s13, exec_lo
.LBB6_1019:                             ;   in Loop: Header=BB6_1021 Depth=3
	s_wait_alu 0xfffe
	s_or_b32 exec_lo, exec_lo, s29
	s_delay_alu instid0(SALU_CYCLE_1)
	s_and_not1_b32 s13, s23, exec_lo
	s_and_b32 s23, s27, exec_lo
	s_and_not1_b32 s22, s22, exec_lo
	s_and_b32 s26, s26, exec_lo
	s_wait_alu 0xfffe
	s_or_b32 s23, s13, s23
	s_or_b32 s22, s22, s26
.LBB6_1020:                             ;   in Loop: Header=BB6_1021 Depth=3
	s_wait_alu 0xfffe
	s_or_b32 exec_lo, exec_lo, s25
	s_delay_alu instid0(SALU_CYCLE_1)
	s_and_b32 s13, exec_lo, s22
	s_wait_alu 0xfffe
	s_or_b32 s20, s13, s20
	s_and_not1_b32 s13, s21, exec_lo
	s_and_b32 s21, s23, exec_lo
	s_wait_alu 0xfffe
	s_or_b32 s21, s13, s21
	s_and_not1_b32 exec_lo, exec_lo, s20
	s_cbranch_execz .LBB6_1025
.LBB6_1021:                             ;   Parent Loop BB6_47 Depth=1
                                        ;     Parent Loop BB6_1013 Depth=2
                                        ; =>    This Inner Loop Header: Depth=3
	s_sleep 1
	flat_load_b64 v[80:81], v[64:65] scope:SCOPE_SYS
	s_wait_loadcnt_dscnt 0x0
	global_inv scope:SCOPE_SYS
	s_or_b32 s23, s23, exec_lo
	s_or_b32 s22, s22, exec_lo
                                        ; implicit-def: $vgpr10
	s_and_saveexec_b32 s25, vcc_lo
	s_cbranch_execz .LBB6_1020
; %bb.1022:                             ;   in Loop: Header=BB6_1021 Depth=3
	s_wait_alu 0xfffe
	s_cmp_lt_i32 s24, 0x270f
	s_mov_b32 s26, -1
	s_cselect_b32 s28, -1, 0
	s_cmp_gt_i32 s24, 0x270e
	s_cbranch_scc0 .LBB6_1024
; %bb.1023:                             ;   in Loop: Header=BB6_1021 Depth=3
	s_trap 2
	ds_load_b64 v[10:11], v0
	s_wait_alu 0xfffe
	s_and_not1_b32 s24, s28, exec_lo
	s_mov_b32 s27, 0
	s_wait_storecnt 0x0
	s_wait_loadcnt_dscnt 0x0
	flat_load_b32 v10, v[10:11] scope:SCOPE_SYS
	s_wait_loadcnt_dscnt 0x0
	global_inv scope:SCOPE_SYS
	v_cmp_eq_u32_e64 s13, 0, v10
	s_and_b32 s13, s13, exec_lo
	s_wait_alu 0xfffe
	s_or_b32 s28, s24, s13
	s_mov_b32 s24, 0
	s_wait_alu 0xfffe
	s_and_saveexec_b32 s29, s28
	s_cbranch_execz .LBB6_1019
	s_branch .LBB6_1018
.LBB6_1024:                             ;   in Loop: Header=BB6_1021 Depth=3
	s_add_co_i32 s24, s24, 1
	s_mov_b32 s27, -1
                                        ; implicit-def: $vgpr10
	s_wait_alu 0xfffe
	s_and_saveexec_b32 s29, s28
	s_cbranch_execz .LBB6_1019
	s_branch .LBB6_1018
.LBB6_1025:                             ;   in Loop: Header=BB6_1013 Depth=2
	s_or_b32 exec_lo, exec_lo, s20
	s_wait_alu 0xfffe
	s_xor_b32 s13, s21, -1
	s_wait_alu 0xfffe
	s_and_saveexec_b32 s20, s13
	s_wait_alu 0xfffe
	s_xor_b32 s13, exec_lo, s20
	s_cbranch_execz .LBB6_1027
; %bb.1026:                             ;   in Loop: Header=BB6_1013 Depth=2
	v_or_b32_e32 v30, 64, v30
	s_wait_loadcnt 0x0
	s_wait_storecnt 0x0
	ds_store_b32 v0, v10
	s_trap 2
.LBB6_1027:                             ;   in Loop: Header=BB6_1013 Depth=2
	s_wait_alu 0xfffe
	s_or_b32 exec_lo, exec_lo, s13
.LBB6_1028:                             ;   in Loop: Header=BB6_1013 Depth=2
	s_wait_alu 0xfffe
	s_or_b32 exec_lo, exec_lo, s19
	v_and_b32_e32 v10, 0x100, v30
	v_and_b32_e32 v14, 7, v96
	s_mov_b32 s13, -1
	;;#ASMSTART
	s_wakeup
	;;#ASMEND
	s_delay_alu instid0(VALU_DEP_2)
	v_cmp_ne_u32_e32 vcc_lo, 0, v10
                                        ; implicit-def: $vgpr10_vgpr11
	s_and_saveexec_b32 s19, vcc_lo
	s_cbranch_execz .LBB6_1032
; %bb.1029:                             ;   in Loop: Header=BB6_1013 Depth=2
	v_mad_co_u64_u32 v[12:13], null, v14, 24, v[6:7]
	flat_load_b32 v10, v[12:13]
	s_wait_loadcnt_dscnt 0x0
	v_cmp_eq_u32_e64 s13, 1, v10
	v_cmp_ne_u32_e32 vcc_lo, 1, v10
                                        ; implicit-def: $vgpr10_vgpr11
	s_wait_alu 0xfffe
	s_and_saveexec_b32 s20, s13
	s_cbranch_execz .LBB6_1031
; %bb.1030:                             ;   in Loop: Header=BB6_1013 Depth=2
	flat_load_b32 v10, v[12:13] offset:4 scope:SCOPE_SYS
	s_wait_loadcnt_dscnt 0x0
	v_ashrrev_i32_e32 v11, 31, v10
.LBB6_1031:                             ;   in Loop: Header=BB6_1013 Depth=2
	s_wait_alu 0xfffe
	s_or_b32 exec_lo, exec_lo, s20
	s_delay_alu instid0(SALU_CYCLE_1)
	s_or_not1_b32 s13, vcc_lo, exec_lo
.LBB6_1032:                             ;   in Loop: Header=BB6_1013 Depth=2
	s_wait_alu 0xfffe
	s_or_b32 exec_lo, exec_lo, s19
	s_and_saveexec_b32 s19, s13
; %bb.1033:                             ;   in Loop: Header=BB6_1013 Depth=2
	v_mad_co_i64_i32 v[10:11], null, v14, v132, 0
; %bb.1034:                             ;   in Loop: Header=BB6_1013 Depth=2
	s_wait_alu 0xfffe
	s_or_b32 exec_lo, exec_lo, s19
	s_delay_alu instid0(VALU_DEP_1) | instskip(SKIP_2) | instid1(VALU_DEP_3)
	v_add_co_u32 v10, vcc_lo, v66, v10
	v_and_b32_e32 v12, 0x2000, v30
	s_wait_alu 0xfffd
	v_add_co_ci_u32_e64 v11, null, v67, v11, vcc_lo
	s_mov_b32 s13, exec_lo
	ds_store_b64 v0, v[10:11] offset:720
	v_cmpx_ne_u32_e32 0, v12
	s_cbranch_execz .LBB6_1036
; %bb.1035:                             ;   in Loop: Header=BB6_1013 Depth=2
	ds_load_b64 v[10:11], v0 offset:872
	s_wait_dscnt 0x0
	v_add_co_u32 v10, vcc_lo, v10, 1
	s_wait_alu 0xfffd
	v_add_co_ci_u32_e64 v11, null, 0, v11, vcc_lo
	ds_store_b64 v0, v[10:11] offset:872
.LBB6_1036:                             ;   in Loop: Header=BB6_1013 Depth=2
	s_wait_alu 0xfffe
	s_or_b32 exec_lo, exec_lo, s13
	v_dual_mov_b32 v97, v9 :: v_dual_mov_b32 v96, v8
.LBB6_1037:                             ;   in Loop: Header=BB6_1013 Depth=2
	s_wait_alu 0xfffe
	s_or_b32 exec_lo, exec_lo, s14
	s_and_saveexec_b32 s13, s2
	s_cbranch_execz .LBB6_1056
; %bb.1038:                             ;   in Loop: Header=BB6_1013 Depth=2
	s_and_saveexec_b32 s14, s3
	s_wait_alu 0xfffe
	s_xor_b32 s14, exec_lo, s14
	s_cbranch_execz .LBB6_1053
; %bb.1039:                             ;   in Loop: Header=BB6_1013 Depth=2
	s_and_saveexec_b32 s19, s6
	s_cbranch_execz .LBB6_1052
; %bb.1040:                             ;   in Loop: Header=BB6_1013 Depth=2
	s_mov_b32 s21, exec_lo
	s_mov_b32 s20, exec_lo
	s_wait_alu 0xfffe
	v_mbcnt_lo_u32_b32 v8, s21, 0
	s_wait_storecnt 0x0
	s_wait_loadcnt_dscnt 0x0
	global_inv scope:SCOPE_DEV
	v_cmpx_eq_u32_e32 0, v8
	s_cbranch_execz .LBB6_1042
; %bb.1041:                             ;   in Loop: Header=BB6_1013 Depth=2
	s_bcnt1_i32_b32 s21, s21
	s_wait_alu 0xfffe
	v_dual_mov_b32 v9, v2 :: v_dual_mov_b32 v8, s21
	s_wait_loadcnt 0x0
	ds_add_u64 v0, v[8:9]
	s_trap 2
.LBB6_1042:                             ;   in Loop: Header=BB6_1013 Depth=2
	s_or_b32 exec_lo, exec_lo, s20
	s_trap 2
	ds_load_b64 v[8:9], v0
	s_wait_dscnt 0x0
	global_inv scope:SCOPE_SE
	v_add_co_u32 v70, vcc_lo, v70, v135
	s_wait_alu 0xfffd
	v_add_co_ci_u32_e64 v71, null, 0, v71, vcc_lo
	s_mov_b32 s20, exec_lo
	v_cmpx_lt_u64_e64 v[8:9], v[70:71]
	s_cbranch_execz .LBB6_1051
; %bb.1043:                             ;   in Loop: Header=BB6_1013 Depth=2
	s_mov_b32 s21, 0
	s_mov_b32 s24, 0
                                        ; implicit-def: $sgpr22
                                        ; implicit-def: $sgpr23
	s_branch .LBB6_1045
.LBB6_1044:                             ;   in Loop: Header=BB6_1045 Depth=3
	s_wait_alu 0xfffe
	s_or_b32 exec_lo, exec_lo, s26
	s_delay_alu instid0(SALU_CYCLE_1)
	s_and_b32 s25, exec_lo, s27
	s_wait_alu 0xfffe
	s_or_b32 s21, s25, s21
	s_and_not1_b32 s22, s22, exec_lo
	s_and_b32 s25, s23, exec_lo
	s_wait_alu 0xfffe
	s_or_b32 s22, s22, s25
	s_and_not1_b32 exec_lo, exec_lo, s21
	s_cbranch_execz .LBB6_1049
.LBB6_1045:                             ;   Parent Loop BB6_47 Depth=1
                                        ;     Parent Loop BB6_1013 Depth=2
                                        ; =>    This Inner Loop Header: Depth=3
	s_wait_alu 0xfffe
	s_add_co_i32 s24, s24, 1
	s_wait_alu 0xfffe
	s_cmp_lg_u32 s24, 0x2710
	s_cselect_b32 s25, -1, 0
	s_wait_alu 0xfffe
	s_and_b32 vcc_lo, exec_lo, s25
	s_wait_alu 0xfffe
	s_cbranch_vccz .LBB6_1047
; %bb.1046:                             ;   in Loop: Header=BB6_1045 Depth=3
	s_mov_b32 s27, -1
	s_or_b32 s23, s23, exec_lo
	s_and_saveexec_b32 s26, s25
	s_cbranch_execz .LBB6_1044
	s_branch .LBB6_1048
.LBB6_1047:                             ;   in Loop: Header=BB6_1045 Depth=3
	s_trap 2
	ds_load_b64 v[8:9], v0
	s_and_not1_b32 s25, s25, exec_lo
	s_mov_b32 s24, 0
	s_wait_loadcnt_dscnt 0x0
	flat_load_b32 v8, v[8:9] scope:SCOPE_SYS
	s_wait_loadcnt_dscnt 0x0
	global_inv scope:SCOPE_SYS
	v_cmp_eq_u32_e32 vcc_lo, 0, v8
	s_and_b32 s26, vcc_lo, exec_lo
	s_wait_alu 0xfffe
	s_or_b32 s25, s25, s26
	s_mov_b32 s27, -1
	s_or_b32 s23, s23, exec_lo
	s_wait_alu 0xfffe
	s_and_saveexec_b32 s26, s25
	s_cbranch_execz .LBB6_1044
.LBB6_1048:                             ;   in Loop: Header=BB6_1045 Depth=3
	s_sleep 1
	s_trap 2
	ds_load_b64 v[8:9], v0
	s_wait_dscnt 0x0
	global_inv scope:SCOPE_SE
	s_wait_alu 0xfffe
	s_and_not1_b32 s23, s23, exec_lo
	v_cmp_ge_u64_e32 vcc_lo, v[8:9], v[70:71]
	s_or_not1_b32 s27, vcc_lo, exec_lo
	s_branch .LBB6_1044
.LBB6_1049:                             ;   in Loop: Header=BB6_1013 Depth=2
	s_or_b32 exec_lo, exec_lo, s21
	s_wait_alu 0xfffe
	s_and_saveexec_b32 s21, s22
	s_wait_alu 0xfffe
	s_xor_b32 s21, exec_lo, s21
	s_cbranch_execz .LBB6_1051
; %bb.1050:                             ;   in Loop: Header=BB6_1013 Depth=2
	ds_store_b32 v0, v145
	s_trap 2
.LBB6_1051:                             ;   in Loop: Header=BB6_1013 Depth=2
	s_wait_alu 0xfffe
	s_or_b32 exec_lo, exec_lo, s20
	;;#ASMSTART
	s_wakeup
	;;#ASMEND
.LBB6_1052:                             ;   in Loop: Header=BB6_1013 Depth=2
	s_wait_alu 0xfffe
	s_or_b32 exec_lo, exec_lo, s19
.LBB6_1053:                             ;   in Loop: Header=BB6_1013 Depth=2
	s_wait_alu 0xfffe
	s_and_not1_saveexec_b32 s14, s14
	s_cbranch_execz .LBB6_1055
; %bb.1054:                             ;   in Loop: Header=BB6_1013 Depth=2
	s_wait_storecnt 0x0
	s_wait_loadcnt_dscnt 0x0
	global_inv scope:SCOPE_DEV
	s_barrier_signal -1
	s_barrier_wait -1
.LBB6_1055:                             ;   in Loop: Header=BB6_1013 Depth=2
	s_wait_alu 0xfffe
	s_or_b32 exec_lo, exec_lo, s14
.LBB6_1056:                             ;   in Loop: Header=BB6_1013 Depth=2
	s_wait_alu 0xfffe
	s_or_b32 exec_lo, exec_lo, s13
	s_trap 2
	ds_load_b32 v12, v0
	v_and_b32_e32 v8, 0x4000, v30
	s_xor_b32 s13, s1, -1
	s_delay_alu instid0(VALU_DEP_1)
	v_cmp_ne_u32_e32 vcc_lo, 0, v8
	s_wait_alu 0xfffe
	s_and_b32 s14, s13, vcc_lo
	s_wait_alu 0xfffe
	s_and_saveexec_b32 s13, s14
	s_cbranch_execz .LBB6_1075
; %bb.1057:                             ;   in Loop: Header=BB6_1013 Depth=2
	s_and_saveexec_b32 s14, s3
	s_wait_alu 0xfffe
	s_xor_b32 s14, exec_lo, s14
	s_cbranch_execz .LBB6_1072
; %bb.1058:                             ;   in Loop: Header=BB6_1013 Depth=2
	s_and_saveexec_b32 s19, s6
	s_cbranch_execz .LBB6_1071
; %bb.1059:                             ;   in Loop: Header=BB6_1013 Depth=2
	s_mov_b32 s21, exec_lo
	s_mov_b32 s20, exec_lo
	s_wait_alu 0xfffe
	v_mbcnt_lo_u32_b32 v8, s21, 0
	s_wait_storecnt 0x0
	s_wait_loadcnt_dscnt 0x0
	global_inv scope:SCOPE_DEV
	v_cmpx_eq_u32_e32 0, v8
	s_cbranch_execz .LBB6_1061
; %bb.1060:                             ;   in Loop: Header=BB6_1013 Depth=2
	s_bcnt1_i32_b32 s21, s21
	s_wait_alu 0xfffe
	v_dual_mov_b32 v9, v2 :: v_dual_mov_b32 v8, s21
	s_wait_loadcnt 0x0
	ds_add_u64 v0, v[8:9]
	s_trap 2
.LBB6_1061:                             ;   in Loop: Header=BB6_1013 Depth=2
	s_or_b32 exec_lo, exec_lo, s20
	s_trap 2
	ds_load_b64 v[8:9], v0
	s_wait_dscnt 0x0
	global_inv scope:SCOPE_SE
	v_add_co_u32 v70, vcc_lo, v70, v135
	s_wait_alu 0xfffd
	v_add_co_ci_u32_e64 v71, null, 0, v71, vcc_lo
	s_mov_b32 s20, exec_lo
	v_cmpx_lt_u64_e64 v[8:9], v[70:71]
	s_cbranch_execz .LBB6_1070
; %bb.1062:                             ;   in Loop: Header=BB6_1013 Depth=2
	s_mov_b32 s21, 0
	s_mov_b32 s24, 0
                                        ; implicit-def: $sgpr22
                                        ; implicit-def: $sgpr23
	s_branch .LBB6_1064
.LBB6_1063:                             ;   in Loop: Header=BB6_1064 Depth=3
	s_wait_alu 0xfffe
	s_or_b32 exec_lo, exec_lo, s26
	s_delay_alu instid0(SALU_CYCLE_1)
	s_and_b32 s25, exec_lo, s27
	s_wait_alu 0xfffe
	s_or_b32 s21, s25, s21
	s_and_not1_b32 s22, s22, exec_lo
	s_and_b32 s25, s23, exec_lo
	s_wait_alu 0xfffe
	s_or_b32 s22, s22, s25
	s_and_not1_b32 exec_lo, exec_lo, s21
	s_cbranch_execz .LBB6_1068
.LBB6_1064:                             ;   Parent Loop BB6_47 Depth=1
                                        ;     Parent Loop BB6_1013 Depth=2
                                        ; =>    This Inner Loop Header: Depth=3
	s_wait_alu 0xfffe
	s_add_co_i32 s24, s24, 1
	s_wait_alu 0xfffe
	s_cmp_lg_u32 s24, 0x2710
	s_cselect_b32 s25, -1, 0
	s_wait_alu 0xfffe
	s_and_b32 vcc_lo, exec_lo, s25
	s_wait_alu 0xfffe
	s_cbranch_vccz .LBB6_1066
; %bb.1065:                             ;   in Loop: Header=BB6_1064 Depth=3
	s_mov_b32 s27, -1
	s_or_b32 s23, s23, exec_lo
	s_and_saveexec_b32 s26, s25
	s_cbranch_execz .LBB6_1063
	s_branch .LBB6_1067
.LBB6_1066:                             ;   in Loop: Header=BB6_1064 Depth=3
	s_trap 2
	ds_load_b64 v[8:9], v0
	s_and_not1_b32 s25, s25, exec_lo
	s_mov_b32 s24, 0
	s_wait_loadcnt_dscnt 0x0
	flat_load_b32 v8, v[8:9] scope:SCOPE_SYS
	s_wait_loadcnt_dscnt 0x0
	global_inv scope:SCOPE_SYS
	v_cmp_eq_u32_e32 vcc_lo, 0, v8
	s_and_b32 s26, vcc_lo, exec_lo
	s_wait_alu 0xfffe
	s_or_b32 s25, s25, s26
	s_mov_b32 s27, -1
	s_or_b32 s23, s23, exec_lo
	s_wait_alu 0xfffe
	s_and_saveexec_b32 s26, s25
	s_cbranch_execz .LBB6_1063
.LBB6_1067:                             ;   in Loop: Header=BB6_1064 Depth=3
	s_sleep 1
	s_trap 2
	ds_load_b64 v[8:9], v0
	s_wait_dscnt 0x0
	global_inv scope:SCOPE_SE
	s_wait_alu 0xfffe
	s_and_not1_b32 s23, s23, exec_lo
	v_cmp_ge_u64_e32 vcc_lo, v[8:9], v[70:71]
	s_or_not1_b32 s27, vcc_lo, exec_lo
	s_branch .LBB6_1063
.LBB6_1068:                             ;   in Loop: Header=BB6_1013 Depth=2
	s_or_b32 exec_lo, exec_lo, s21
	s_wait_alu 0xfffe
	s_and_saveexec_b32 s21, s22
	s_wait_alu 0xfffe
	s_xor_b32 s21, exec_lo, s21
	s_cbranch_execz .LBB6_1070
; %bb.1069:                             ;   in Loop: Header=BB6_1013 Depth=2
	ds_store_b32 v0, v145
	s_trap 2
.LBB6_1070:                             ;   in Loop: Header=BB6_1013 Depth=2
	s_wait_alu 0xfffe
	s_or_b32 exec_lo, exec_lo, s20
	;;#ASMSTART
	s_wakeup
	;;#ASMEND
.LBB6_1071:                             ;   in Loop: Header=BB6_1013 Depth=2
	s_wait_alu 0xfffe
	s_or_b32 exec_lo, exec_lo, s19
.LBB6_1072:                             ;   in Loop: Header=BB6_1013 Depth=2
	s_wait_alu 0xfffe
	s_and_not1_saveexec_b32 s14, s14
	s_cbranch_execz .LBB6_1074
; %bb.1073:                             ;   in Loop: Header=BB6_1013 Depth=2
	s_wait_storecnt 0x0
	s_wait_loadcnt_dscnt 0x0
	global_inv scope:SCOPE_DEV
	s_barrier_signal -1
	s_barrier_wait -1
.LBB6_1074:                             ;   in Loop: Header=BB6_1013 Depth=2
	s_wait_alu 0xfffe
	s_or_b32 exec_lo, exec_lo, s14
.LBB6_1075:                             ;   in Loop: Header=BB6_1013 Depth=2
	s_wait_alu 0xfffe
	s_or_b32 exec_lo, exec_lo, s13
	s_trap 2
	ds_load_b64 v[8:9], v0
	v_sub_nc_u32_e32 v10, v3, v17
	s_delay_alu instid0(VALU_DEP_1)
	v_min_i32_e32 v16, v16, v10
	s_wait_dscnt 0x0
	v_cmp_eq_u64_e32 vcc_lo, 0, v[8:9]
	s_cbranch_vccnz .LBB6_1083
; %bb.1076:                             ;   in Loop: Header=BB6_1013 Depth=2
	s_trap 2
	ds_load_b64 v[10:11], v0
	s_wait_dscnt 0x0
	v_cmp_eq_u64_e32 vcc_lo, 0, v[10:11]
	s_cbranch_vccnz .LBB6_1083
; %bb.1077:                             ;   in Loop: Header=BB6_1013 Depth=2
	s_mov_b32 s13, -1
	s_and_saveexec_b32 s14, s11
	s_cbranch_execz .LBB6_1079
; %bb.1078:                             ;   in Loop: Header=BB6_1013 Depth=2
	ds_load_b32 v13, v0 offset:720
	s_wait_dscnt 0x0
	v_and_b32_e32 v13, 15, v13
	s_delay_alu instid0(VALU_DEP_1)
	v_cmp_eq_u32_e32 vcc_lo, 0, v13
	s_or_not1_b32 s13, vcc_lo, exec_lo
.LBB6_1079:                             ;   in Loop: Header=BB6_1013 Depth=2
	s_wait_alu 0xfffe
	s_or_b32 exec_lo, exec_lo, s14
	s_and_saveexec_b32 s14, s7
	s_cbranch_execz .LBB6_1081
; %bb.1080:                             ;   in Loop: Header=BB6_1013 Depth=2
	ds_load_b32 v13, v0 offset:784
	s_wait_dscnt 0x0
	v_and_b32_e32 v13, 15, v13
	s_delay_alu instid0(VALU_DEP_1)
	v_cmp_eq_u32_e32 vcc_lo, 0, v13
	s_and_b32 s19, s13, vcc_lo
	s_and_not1_b32 s13, s13, exec_lo
	s_wait_alu 0xfffe
	s_and_b32 s19, s19, exec_lo
	s_wait_alu 0xfffe
	s_or_b32 s13, s13, s19
.LBB6_1081:                             ;   in Loop: Header=BB6_1013 Depth=2
	s_wait_alu 0xfffe
	s_or_b32 exec_lo, exec_lo, s14
	v_cmp_eq_u32_e32 vcc_lo, 0, v12
	s_xor_b32 s13, s13, -1
	v_mov_b32_e32 v14, v0
	s_wait_alu 0xfffe
	v_cndmask_b32_e64 v13, 0, 1, s13
	s_mov_b32 s13, -1
	s_wait_alu 0xfffd
	v_dual_cndmask_b32 v20, 0, v16 :: v_dual_mov_b32 v25, v163
	v_mov_b32_e32 v12, 0
	v_cmp_ne_u32_e32 vcc_lo, 0, v13
	s_delay_alu instid0(VALU_DEP_3)
	v_mov_b32_e32 v13, v20
	s_cbranch_vccz .LBB6_1088
; %bb.1082:                             ;   in Loop: Header=BB6_1013 Depth=2
	s_wait_alu 0xfffe
	s_and_saveexec_b32 s14, s13
	s_cbranch_execnz .LBB6_1101
	s_branch .LBB6_1109
.LBB6_1083:                             ;   in Loop: Header=BB6_1013 Depth=2
	s_mov_b32 s13, 0
	s_and_saveexec_b32 s14, s2
	s_cbranch_execnz .LBB6_1110
.LBB6_1084:                             ;   in Loop: Header=BB6_1013 Depth=2
	s_wait_alu 0xfffe
	s_or_b32 exec_lo, exec_lo, s14
	s_and_saveexec_b32 s14, s10
	s_wait_alu 0xfffe
	s_xor_b32 s14, exec_lo, s14
	s_cbranch_execz .LBB6_1128
.LBB6_1085:                             ;   in Loop: Header=BB6_1013 Depth=2
	v_and_b32_e32 v8, 16, v30
	s_delay_alu instid0(VALU_DEP_1)
	v_cmp_ne_u32_e32 vcc_lo, 0, v8
	s_and_b32 s19, vcc_lo, s13
	s_wait_alu 0xfffe
	s_and_saveexec_b32 s13, s19
	s_cbranch_execz .LBB6_1087
; %bb.1086:                             ;   in Loop: Header=BB6_1013 Depth=2
	global_wb scope:SCOPE_SYS
	s_wait_storecnt 0x0
	s_wait_loadcnt_dscnt 0x0
	global_inv scope:SCOPE_SYS
.LBB6_1087:                             ;   in Loop: Header=BB6_1013 Depth=2
	s_wait_alu 0xfffe
	s_or_b32 exec_lo, exec_lo, s13
	s_and_not1_saveexec_b32 s13, s14
	s_cbranch_execz .LBB6_1147
	s_branch .LBB6_1129
.LBB6_1088:                             ;   in Loop: Header=BB6_1013 Depth=2
	v_ashrrev_i32_e32 v12, 31, v20
	s_mov_b32 s13, exec_lo
	s_delay_alu instid0(VALU_DEP_1) | instskip(NEXT) | instid1(VALU_DEP_1)
	v_lshrrev_b32_e32 v12, 20, v12
	v_add_nc_u32_e32 v12, v20, v12
	s_delay_alu instid0(VALU_DEP_1) | instskip(NEXT) | instid1(VALU_DEP_1)
	v_ashrrev_i32_e32 v22, 12, v12
	v_sub_nc_u32_e32 v21, v22, v163
	s_delay_alu instid0(VALU_DEP_1)
	v_cmpx_lt_i32_e32 0, v21
	s_cbranch_execz .LBB6_1092
; %bb.1089:                             ;   in Loop: Header=BB6_1013 Depth=2
	v_dual_mov_b32 v13, v11 :: v_dual_mov_b32 v12, v10
	v_dual_mov_b32 v15, v9 :: v_dual_mov_b32 v14, v8
	s_mov_b32 s14, 0
.LBB6_1090:                             ;   Parent Loop BB6_47 Depth=1
                                        ;     Parent Loop BB6_1013 Depth=2
                                        ; =>    This Inner Loop Header: Depth=3
	s_delay_alu instid0(VALU_DEP_1) | instskip(SKIP_1) | instid1(VALU_DEP_2)
	v_add_co_u32 v102, vcc_lo, v176, v14
	s_wait_alu 0xfffd
	v_add_co_ci_u32_e64 v103, null, v180, v15, vcc_lo
	v_sub_nc_u32_e32 v21, v21, v135
	s_clause 0x7
	global_load_b128 v[23:26], v[102:103], off th:TH_LOAD_NT
	global_load_b128 v[32:35], v[102:103], off offset:512 th:TH_LOAD_NT
	global_load_b128 v[36:39], v[102:103], off offset:1024 th:TH_LOAD_NT
	;; [unrolled: 1-line block ×7, first 2 shown]
	v_add_co_u32 v102, vcc_lo, v176, v12
	s_wait_alu 0xfffd
	v_add_co_ci_u32_e64 v103, null, v180, v13, vcc_lo
	v_add_co_u32 v14, vcc_lo, v14, v148
	s_wait_alu 0xfffd
	v_add_co_ci_u32_e64 v15, null, 0, v15, vcc_lo
	;; [unrolled: 3-line block ×3, first 2 shown]
	v_cmp_gt_i32_e32 vcc_lo, 1, v21
	s_wait_loadcnt 0x7
	global_store_b128 v[102:103], v[23:26], off th:TH_STORE_NT
	s_wait_loadcnt 0x6
	global_store_b128 v[102:103], v[32:35], off offset:512 th:TH_STORE_NT
	s_wait_loadcnt 0x5
	global_store_b128 v[102:103], v[36:39], off offset:1024 th:TH_STORE_NT
	;; [unrolled: 2-line block ×7, first 2 shown]
	s_wait_alu 0xfffe
	s_or_b32 s14, vcc_lo, s14
	s_wait_alu 0xfffe
	s_and_not1_b32 exec_lo, exec_lo, s14
	s_cbranch_execnz .LBB6_1090
; %bb.1091:                             ;   in Loop: Header=BB6_1013 Depth=2
	s_or_b32 exec_lo, exec_lo, s14
.LBB6_1092:                             ;   in Loop: Header=BB6_1013 Depth=2
	s_wait_alu 0xfffe
	s_or_b32 exec_lo, exec_lo, s13
	v_dual_mov_b32 v12, 0 :: v_dual_lshlrev_b32 v15, 12, v22
	s_mov_b32 s13, 0
	s_mov_b32 s19, exec_lo
                                        ; implicit-def: $vgpr13
                                        ; implicit-def: $vgpr14
                                        ; implicit-def: $vgpr25
	s_delay_alu instid0(VALU_DEP_1)
	v_cmpx_ne_u32_e64 v20, v15
	s_cbranch_execz .LBB6_1100
; %bb.1093:                             ;   in Loop: Header=BB6_1013 Depth=2
	v_lshlrev_b32_e32 v12, 5, v21
	v_sub_nc_u32_e32 v14, v20, v15
	s_mov_b32 s20, exec_lo
	s_delay_alu instid0(VALU_DEP_2) | instskip(NEXT) | instid1(VALU_DEP_2)
	v_sub_nc_u32_e32 v12, v165, v12
	v_ashrrev_i32_e32 v21, 31, v14
	s_delay_alu instid0(VALU_DEP_2) | instskip(NEXT) | instid1(VALU_DEP_2)
	v_ashrrev_i32_e32 v13, 31, v12
	v_lshrrev_b32_e32 v21, 23, v21
	s_delay_alu instid0(VALU_DEP_2) | instskip(NEXT) | instid1(VALU_DEP_2)
	v_lshrrev_b32_e32 v13, 27, v13
	v_add_nc_u32_e32 v24, v14, v21
	s_delay_alu instid0(VALU_DEP_2) | instskip(NEXT) | instid1(VALU_DEP_2)
	v_add_nc_u32_e32 v13, v12, v13
	v_and_b32_e32 v21, 0xfffffe00, v24
	v_ashrrev_i32_e32 v24, 9, v24
	s_delay_alu instid0(VALU_DEP_3) | instskip(NEXT) | instid1(VALU_DEP_3)
	v_and_b32_e32 v22, 0xffffffe0, v13
	v_sub_nc_u32_e32 v23, v14, v21
	v_ashrrev_i32_e32 v25, 5, v13
	s_delay_alu instid0(VALU_DEP_3) | instskip(NEXT) | instid1(VALU_DEP_3)
	v_sub_nc_u32_e32 v22, v12, v22
	v_cmp_lt_i32_e32 vcc_lo, 15, v23
	s_delay_alu instid0(VALU_DEP_2) | instskip(SKIP_2) | instid1(VALU_DEP_2)
	v_lshlrev_b32_e32 v12, 4, v22
	s_wait_alu 0xfffd
	v_add_co_ci_u32_e64 v24, null, 0, v24, vcc_lo
	v_lshl_add_u32 v13, v25, 9, v12
	s_delay_alu instid0(VALU_DEP_2) | instskip(NEXT) | instid1(VALU_DEP_2)
	v_sub_nc_u32_e32 v24, v24, v25
	v_sub_nc_u32_e32 v12, v14, v13
	s_delay_alu instid0(VALU_DEP_1)
	v_cmpx_lt_i32_e32 15, v12
	s_cbranch_execz .LBB6_1097
; %bb.1094:                             ;   in Loop: Header=BB6_1013 Depth=2
	v_add_nc_u32_e32 v13, v13, v15
	s_mov_b32 s21, 0
	s_delay_alu instid0(VALU_DEP_1)
	v_ashrrev_i32_e32 v14, 31, v13
.LBB6_1095:                             ;   Parent Loop BB6_47 Depth=1
                                        ;     Parent Loop BB6_1013 Depth=2
                                        ; =>    This Inner Loop Header: Depth=3
	v_add_co_u32 v25, s13, v8, v13
	s_wait_alu 0xf1fe
	s_delay_alu instid0(VALU_DEP_2)
	v_add_co_ci_u32_e64 v26, null, v9, v14, s13
	v_sub_nc_u32_e32 v12, v12, v149
	v_sub_nc_u32_e32 v24, v24, v135
	global_load_b128 v[32:35], v[25:26], off th:TH_LOAD_NT
	v_add_co_u32 v25, s13, v10, v13
	s_wait_alu 0xf1ff
	v_add_co_ci_u32_e64 v26, null, v11, v14, s13
	v_cmp_gt_i32_e64 s13, 16, v12
	v_add_co_u32 v13, s14, v13, v149
	s_wait_alu 0xf1ff
	v_add_co_ci_u32_e64 v14, null, 0, v14, s14
	s_or_b32 s21, s13, s21
	s_wait_loadcnt 0x0
	global_store_b128 v[25:26], v[32:35], off th:TH_STORE_NT
	s_wait_alu 0xfffe
	s_and_not1_b32 exec_lo, exec_lo, s21
	s_cbranch_execnz .LBB6_1095
; %bb.1096:                             ;   in Loop: Header=BB6_1013 Depth=2
	s_or_b32 exec_lo, exec_lo, s21
.LBB6_1097:                             ;   in Loop: Header=BB6_1013 Depth=2
	s_wait_alu 0xfffe
	s_or_b32 exec_lo, exec_lo, s20
	v_and_b32_e32 v26, 15, v20
	s_mov_b32 s14, 0
	s_mov_b32 s20, exec_lo
                                        ; implicit-def: $vgpr14
                                        ; implicit-def: $vgpr25
	s_delay_alu instid0(VALU_DEP_1) | instskip(NEXT) | instid1(VALU_DEP_1)
	v_dual_mov_b32 v12, 0 :: v_dual_cndmask_b32 v13, v23, v26
	v_cmpx_ne_u32_e32 0, v13
	s_cbranch_execz .LBB6_1099
; %bb.1098:                             ;   in Loop: Header=BB6_1013 Depth=2
	v_cmp_lt_i32_e64 s13, 0, v24
	s_mov_b32 s14, exec_lo
	s_wait_alu 0xf1ff
	v_cndmask_b32_e64 v12, 0, v135, s13
	s_delay_alu instid0(VALU_DEP_1) | instskip(NEXT) | instid1(VALU_DEP_1)
	v_sub_nc_u32_e32 v12, v12, v24
	v_lshl_add_u32 v14, v12, 5, v22
	v_sub_nc_u32_e32 v22, v23, v26
	s_delay_alu instid0(VALU_DEP_2) | instskip(NEXT) | instid1(VALU_DEP_1)
	v_ashrrev_i32_e32 v12, 31, v14
	v_lshrrev_b32_e32 v12, 27, v12
	s_delay_alu instid0(VALU_DEP_1) | instskip(NEXT) | instid1(VALU_DEP_1)
	v_dual_cndmask_b32 v22, 0, v22 :: v_dual_add_nc_u32 v23, v14, v12
	v_add3_u32 v12, v21, v15, v22
	s_delay_alu instid0(VALU_DEP_2)
	v_ashrrev_i32_e32 v25, 5, v23
.LBB6_1099:                             ;   in Loop: Header=BB6_1013 Depth=2
	s_wait_alu 0xfffe
	s_or_b32 exec_lo, exec_lo, s20
	s_delay_alu instid0(SALU_CYCLE_1)
	s_and_b32 s13, s14, exec_lo
.LBB6_1100:                             ;   in Loop: Header=BB6_1013 Depth=2
	s_wait_alu 0xfffe
	s_or_b32 exec_lo, exec_lo, s19
	s_and_saveexec_b32 s14, s13
	s_cbranch_execz .LBB6_1109
.LBB6_1101:                             ;   in Loop: Header=BB6_1013 Depth=2
	v_ashrrev_i32_e32 v15, 31, v13
	v_ashrrev_i32_e32 v21, 31, v14
	s_mov_b32 s13, exec_lo
	s_delay_alu instid0(VALU_DEP_2) | instskip(NEXT) | instid1(VALU_DEP_2)
	v_lshrrev_b32_e32 v15, 22, v15
	v_lshrrev_b32_e32 v21, 27, v21
	s_delay_alu instid0(VALU_DEP_2) | instskip(NEXT) | instid1(VALU_DEP_1)
	v_add_nc_u32_e32 v15, v13, v15
	v_ashrrev_i32_e32 v22, 10, v15
	s_delay_alu instid0(VALU_DEP_1) | instskip(NEXT) | instid1(VALU_DEP_1)
	v_sub_nc_u32_e32 v15, v22, v25
	v_cmpx_lt_i32_e32 0, v15
	s_cbranch_execz .LBB6_1105
; %bb.1102:                             ;   in Loop: Header=BB6_1013 Depth=2
	v_add_nc_u32_e32 v23, v14, v21
	v_lshlrev_b32_e32 v24, 10, v25
	s_mov_b32 s19, 0
	s_delay_alu instid0(VALU_DEP_2) | instskip(NEXT) | instid1(VALU_DEP_1)
	v_and_b32_e32 v23, 0xffffffe0, v23
	v_sub_nc_u32_e32 v23, v14, v23
	s_delay_alu instid0(VALU_DEP_1) | instskip(NEXT) | instid1(VALU_DEP_1)
	v_add3_u32 v23, v12, v23, v24
	v_ashrrev_i32_e32 v24, 31, v23
.LBB6_1103:                             ;   Parent Loop BB6_47 Depth=1
                                        ;     Parent Loop BB6_1013 Depth=2
                                        ; =>    This Inner Loop Header: Depth=3
	v_add_co_u32 v25, vcc_lo, v23, v8
	s_wait_alu 0xfffd
	s_delay_alu instid0(VALU_DEP_2)
	v_add_co_ci_u32_e64 v26, null, v24, v9, vcc_lo
	v_sub_nc_u32_e32 v15, v15, v135
	s_clause 0x1f
	flat_load_u8 v27, v[25:26] th:TH_LOAD_NT
	flat_load_u8 v32, v[25:26] offset:32 th:TH_LOAD_NT
	flat_load_u8 v33, v[25:26] offset:64 th:TH_LOAD_NT
	;; [unrolled: 1-line block ×31, first 2 shown]
	v_add_co_u32 v25, vcc_lo, v23, v10
	s_wait_alu 0xfffd
	v_add_co_ci_u32_e64 v26, null, v24, v11, vcc_lo
	v_add_co_u32 v8, vcc_lo, v8, v150
	s_wait_alu 0xfffd
	v_add_co_ci_u32_e64 v9, null, 0, v9, vcc_lo
	;; [unrolled: 3-line block ×3, first 2 shown]
	v_cmp_gt_i32_e32 vcc_lo, 1, v15
	s_wait_loadcnt_dscnt 0x1f1f
	flat_store_b8 v[25:26], v27 th:TH_STORE_NT
	s_wait_loadcnt_dscnt 0x1e1f
	flat_store_b8 v[25:26], v32 offset:32 th:TH_STORE_NT
	s_wait_loadcnt_dscnt 0x1d1f
	flat_store_b8 v[25:26], v33 offset:64 th:TH_STORE_NT
	;; [unrolled: 2-line block ×31, first 2 shown]
	s_wait_alu 0xfffe
	s_or_b32 s19, vcc_lo, s19
	s_wait_alu 0xfffe
	s_and_not1_b32 exec_lo, exec_lo, s19
	s_cbranch_execnz .LBB6_1103
; %bb.1104:                             ;   in Loop: Header=BB6_1013 Depth=2
	s_or_b32 exec_lo, exec_lo, s19
.LBB6_1105:                             ;   in Loop: Header=BB6_1013 Depth=2
	s_wait_alu 0xfffe
	s_or_b32 exec_lo, exec_lo, s13
	v_lshlrev_b32_e32 v8, 10, v22
	s_delay_alu instid0(VALU_DEP_1)
	v_cmp_ne_u32_e32 vcc_lo, v13, v8
	s_and_b32 exec_lo, exec_lo, vcc_lo
	s_cbranch_execz .LBB6_1109
; %bb.1106:                             ;   in Loop: Header=BB6_1013 Depth=2
	v_add_nc_u32_e32 v9, v14, v21
	v_lshlrev_b32_e32 v10, 5, v15
	s_delay_alu instid0(VALU_DEP_2) | instskip(NEXT) | instid1(VALU_DEP_1)
	v_and_b32_e32 v9, 0xffffffe0, v9
	v_sub_nc_u32_e32 v9, v14, v9
	s_delay_alu instid0(VALU_DEP_1) | instskip(NEXT) | instid1(VALU_DEP_1)
	v_sub_nc_u32_e32 v9, v9, v10
	v_add_nc_u32_e32 v11, v8, v9
	s_delay_alu instid0(VALU_DEP_1) | instskip(NEXT) | instid1(VALU_DEP_1)
	v_sub_nc_u32_e32 v10, v13, v11
	v_cmp_lt_i32_e32 vcc_lo, 0, v10
	s_and_b32 exec_lo, exec_lo, vcc_lo
	s_cbranch_execz .LBB6_1109
; %bb.1107:                             ;   in Loop: Header=BB6_1013 Depth=2
	s_trap 2
	ds_load_b64 v[8:9], v0
	v_add_nc_u32_e32 v11, v11, v12
	s_mov_b32 s19, 0
	s_delay_alu instid0(VALU_DEP_1)
	v_ashrrev_i32_e32 v12, 31, v11
.LBB6_1108:                             ;   Parent Loop BB6_47 Depth=1
                                        ;     Parent Loop BB6_1013 Depth=2
                                        ; =>    This Inner Loop Header: Depth=3
	s_wait_dscnt 0x0
	v_add_co_u32 v13, vcc_lo, v8, v11
	s_wait_alu 0xfffd
	s_delay_alu instid0(VALU_DEP_2)
	v_add_co_ci_u32_e64 v14, null, v9, v12, vcc_lo
	v_sub_nc_u32_e32 v10, v10, v144
	v_add_co_u32 v11, s13, v11, v144
	flat_load_u8 v15, v[13:14] th:TH_LOAD_NT
	s_wait_alu 0xf1ff
	v_add_co_ci_u32_e64 v12, null, 0, v12, s13
	v_cmp_gt_i32_e32 vcc_lo, 1, v10
	s_wait_alu 0xfffe
	s_or_b32 s19, vcc_lo, s19
	s_wait_loadcnt_dscnt 0x0
	flat_store_b8 v[13:14], v15 th:TH_STORE_NT
	s_wait_alu 0xfffe
	s_and_not1_b32 exec_lo, exec_lo, s19
	s_cbranch_execnz .LBB6_1108
.LBB6_1109:                             ;   in Loop: Header=BB6_1013 Depth=2
	s_wait_alu 0xfffe
	s_or_b32 exec_lo, exec_lo, s14
	v_cmp_lt_i32_e64 s13, 0, v20
	s_and_saveexec_b32 s14, s2
	s_cbranch_execz .LBB6_1084
.LBB6_1110:                             ;   in Loop: Header=BB6_1013 Depth=2
	s_and_saveexec_b32 s19, s3
	s_wait_alu 0xfffe
	s_xor_b32 s19, exec_lo, s19
	s_cbranch_execz .LBB6_1125
; %bb.1111:                             ;   in Loop: Header=BB6_1013 Depth=2
	s_and_saveexec_b32 s20, s6
	s_cbranch_execz .LBB6_1124
; %bb.1112:                             ;   in Loop: Header=BB6_1013 Depth=2
	s_mov_b32 s22, exec_lo
	s_mov_b32 s21, exec_lo
	s_wait_alu 0xfffe
	v_mbcnt_lo_u32_b32 v8, s22, 0
	s_wait_storecnt 0x0
	s_wait_loadcnt_dscnt 0x0
	global_inv scope:SCOPE_DEV
	v_cmpx_eq_u32_e32 0, v8
	s_cbranch_execz .LBB6_1114
; %bb.1113:                             ;   in Loop: Header=BB6_1013 Depth=2
	s_bcnt1_i32_b32 s22, s22
	s_wait_alu 0xfffe
	v_dual_mov_b32 v9, v2 :: v_dual_mov_b32 v8, s22
	s_wait_loadcnt 0x0
	ds_add_u64 v0, v[8:9]
	s_trap 2
.LBB6_1114:                             ;   in Loop: Header=BB6_1013 Depth=2
	s_or_b32 exec_lo, exec_lo, s21
	s_trap 2
	ds_load_b64 v[8:9], v0
	s_wait_dscnt 0x0
	global_inv scope:SCOPE_SE
	v_add_co_u32 v70, vcc_lo, v70, v135
	s_wait_alu 0xfffd
	v_add_co_ci_u32_e64 v71, null, 0, v71, vcc_lo
	s_mov_b32 s21, exec_lo
	v_cmpx_lt_u64_e64 v[8:9], v[70:71]
	s_cbranch_execz .LBB6_1123
; %bb.1115:                             ;   in Loop: Header=BB6_1013 Depth=2
	s_mov_b32 s22, 0
	s_mov_b32 s25, 0
                                        ; implicit-def: $sgpr23
                                        ; implicit-def: $sgpr24
	s_branch .LBB6_1117
.LBB6_1116:                             ;   in Loop: Header=BB6_1117 Depth=3
	s_wait_alu 0xfffe
	s_or_b32 exec_lo, exec_lo, s27
	s_delay_alu instid0(SALU_CYCLE_1)
	s_and_b32 s26, exec_lo, s28
	s_wait_alu 0xfffe
	s_or_b32 s22, s26, s22
	s_and_not1_b32 s23, s23, exec_lo
	s_and_b32 s26, s24, exec_lo
	s_wait_alu 0xfffe
	s_or_b32 s23, s23, s26
	s_and_not1_b32 exec_lo, exec_lo, s22
	s_cbranch_execz .LBB6_1121
.LBB6_1117:                             ;   Parent Loop BB6_47 Depth=1
                                        ;     Parent Loop BB6_1013 Depth=2
                                        ; =>    This Inner Loop Header: Depth=3
	s_wait_alu 0xfffe
	s_add_co_i32 s25, s25, 1
	s_wait_alu 0xfffe
	s_cmp_lg_u32 s25, 0x2710
	s_cselect_b32 s26, -1, 0
	s_wait_alu 0xfffe
	s_and_b32 vcc_lo, exec_lo, s26
	s_wait_alu 0xfffe
	s_cbranch_vccz .LBB6_1119
; %bb.1118:                             ;   in Loop: Header=BB6_1117 Depth=3
	s_mov_b32 s28, -1
	s_or_b32 s24, s24, exec_lo
	s_and_saveexec_b32 s27, s26
	s_cbranch_execz .LBB6_1116
	s_branch .LBB6_1120
.LBB6_1119:                             ;   in Loop: Header=BB6_1117 Depth=3
	s_trap 2
	ds_load_b64 v[8:9], v0
	s_and_not1_b32 s26, s26, exec_lo
	s_mov_b32 s25, 0
	s_wait_loadcnt_dscnt 0x0
	flat_load_b32 v8, v[8:9] scope:SCOPE_SYS
	s_wait_loadcnt_dscnt 0x0
	global_inv scope:SCOPE_SYS
	v_cmp_eq_u32_e32 vcc_lo, 0, v8
	s_and_b32 s27, vcc_lo, exec_lo
	s_wait_alu 0xfffe
	s_or_b32 s26, s26, s27
	s_mov_b32 s28, -1
	s_or_b32 s24, s24, exec_lo
	s_wait_alu 0xfffe
	s_and_saveexec_b32 s27, s26
	s_cbranch_execz .LBB6_1116
.LBB6_1120:                             ;   in Loop: Header=BB6_1117 Depth=3
	s_sleep 1
	s_trap 2
	ds_load_b64 v[8:9], v0
	s_wait_dscnt 0x0
	global_inv scope:SCOPE_SE
	s_wait_alu 0xfffe
	s_and_not1_b32 s24, s24, exec_lo
	v_cmp_ge_u64_e32 vcc_lo, v[8:9], v[70:71]
	s_or_not1_b32 s28, vcc_lo, exec_lo
	s_branch .LBB6_1116
.LBB6_1121:                             ;   in Loop: Header=BB6_1013 Depth=2
	s_or_b32 exec_lo, exec_lo, s22
	s_wait_alu 0xfffe
	s_and_saveexec_b32 s22, s23
	s_wait_alu 0xfffe
	s_xor_b32 s22, exec_lo, s22
	s_cbranch_execz .LBB6_1123
; %bb.1122:                             ;   in Loop: Header=BB6_1013 Depth=2
	ds_store_b32 v0, v145
	s_trap 2
.LBB6_1123:                             ;   in Loop: Header=BB6_1013 Depth=2
	s_wait_alu 0xfffe
	s_or_b32 exec_lo, exec_lo, s21
	;;#ASMSTART
	s_wakeup
	;;#ASMEND
.LBB6_1124:                             ;   in Loop: Header=BB6_1013 Depth=2
	s_wait_alu 0xfffe
	s_or_b32 exec_lo, exec_lo, s20
.LBB6_1125:                             ;   in Loop: Header=BB6_1013 Depth=2
	s_wait_alu 0xfffe
	s_and_not1_saveexec_b32 s19, s19
	s_cbranch_execz .LBB6_1127
; %bb.1126:                             ;   in Loop: Header=BB6_1013 Depth=2
	s_wait_storecnt 0x0
	s_wait_loadcnt_dscnt 0x0
	global_inv scope:SCOPE_DEV
	s_barrier_signal -1
	s_barrier_wait -1
.LBB6_1127:                             ;   in Loop: Header=BB6_1013 Depth=2
	s_wait_alu 0xfffe
	s_or_b32 exec_lo, exec_lo, s19
	s_delay_alu instid0(SALU_CYCLE_1)
	s_or_b32 exec_lo, exec_lo, s14
	s_and_saveexec_b32 s14, s10
	s_wait_alu 0xfffe
	s_xor_b32 s14, exec_lo, s14
	s_cbranch_execnz .LBB6_1085
.LBB6_1128:                             ;   in Loop: Header=BB6_1013 Depth=2
	s_wait_alu 0xfffe
	s_and_not1_saveexec_b32 s13, s14
	s_cbranch_execz .LBB6_1147
.LBB6_1129:                             ;   in Loop: Header=BB6_1013 Depth=2
	s_and_saveexec_b32 s14, s3
	s_wait_alu 0xfffe
	s_xor_b32 s14, exec_lo, s14
	s_cbranch_execz .LBB6_1144
; %bb.1130:                             ;   in Loop: Header=BB6_1013 Depth=2
	s_and_saveexec_b32 s19, s6
	s_cbranch_execz .LBB6_1143
; %bb.1131:                             ;   in Loop: Header=BB6_1013 Depth=2
	s_mov_b32 s21, exec_lo
	s_mov_b32 s20, exec_lo
	s_wait_alu 0xfffe
	v_mbcnt_lo_u32_b32 v8, s21, 0
	;;#ASMSTART
	s_waitcnt lgkmcnt(0) vmcnt(0)
	;;#ASMEND
	s_delay_alu instid0(VALU_DEP_1)
	v_cmpx_eq_u32_e32 0, v8
	s_cbranch_execz .LBB6_1133
; %bb.1132:                             ;   in Loop: Header=BB6_1013 Depth=2
	s_bcnt1_i32_b32 s21, s21
	s_wait_alu 0xfffe
	v_dual_mov_b32 v9, v2 :: v_dual_mov_b32 v8, s21
	s_wait_storecnt 0x0
	s_wait_loadcnt_dscnt 0x0
	ds_add_u64 v0, v[8:9]
	s_trap 2
.LBB6_1133:                             ;   in Loop: Header=BB6_1013 Depth=2
	s_or_b32 exec_lo, exec_lo, s20
	s_trap 2
	ds_load_b64 v[8:9], v0
	s_wait_dscnt 0x0
	global_inv scope:SCOPE_SE
	v_add_co_u32 v70, vcc_lo, v70, v135
	s_wait_alu 0xfffd
	v_add_co_ci_u32_e64 v71, null, 0, v71, vcc_lo
	s_mov_b32 s20, exec_lo
	v_cmpx_lt_u64_e64 v[8:9], v[70:71]
	s_cbranch_execz .LBB6_1142
; %bb.1134:                             ;   in Loop: Header=BB6_1013 Depth=2
	s_mov_b32 s21, 0
	s_mov_b32 s24, 0
                                        ; implicit-def: $sgpr22
                                        ; implicit-def: $sgpr23
	s_branch .LBB6_1136
.LBB6_1135:                             ;   in Loop: Header=BB6_1136 Depth=3
	s_wait_alu 0xfffe
	s_or_b32 exec_lo, exec_lo, s26
	s_delay_alu instid0(SALU_CYCLE_1)
	s_and_b32 s25, exec_lo, s27
	s_wait_alu 0xfffe
	s_or_b32 s21, s25, s21
	s_and_not1_b32 s22, s22, exec_lo
	s_and_b32 s25, s23, exec_lo
	s_wait_alu 0xfffe
	s_or_b32 s22, s22, s25
	s_and_not1_b32 exec_lo, exec_lo, s21
	s_cbranch_execz .LBB6_1140
.LBB6_1136:                             ;   Parent Loop BB6_47 Depth=1
                                        ;     Parent Loop BB6_1013 Depth=2
                                        ; =>    This Inner Loop Header: Depth=3
	s_wait_alu 0xfffe
	s_add_co_i32 s24, s24, 1
	s_wait_alu 0xfffe
	s_cmp_lg_u32 s24, 0x2710
	s_cselect_b32 s25, -1, 0
	s_wait_alu 0xfffe
	s_and_b32 vcc_lo, exec_lo, s25
	s_wait_alu 0xfffe
	s_cbranch_vccz .LBB6_1138
; %bb.1137:                             ;   in Loop: Header=BB6_1136 Depth=3
	s_mov_b32 s27, -1
	s_or_b32 s23, s23, exec_lo
	s_and_saveexec_b32 s26, s25
	s_cbranch_execz .LBB6_1135
	s_branch .LBB6_1139
.LBB6_1138:                             ;   in Loop: Header=BB6_1136 Depth=3
	s_trap 2
	ds_load_b64 v[8:9], v0
	s_and_not1_b32 s25, s25, exec_lo
	s_mov_b32 s24, 0
	s_wait_storecnt 0x0
	s_wait_loadcnt_dscnt 0x0
	flat_load_b32 v8, v[8:9] scope:SCOPE_SYS
	s_wait_loadcnt_dscnt 0x0
	global_inv scope:SCOPE_SYS
	v_cmp_eq_u32_e32 vcc_lo, 0, v8
	s_and_b32 s26, vcc_lo, exec_lo
	s_wait_alu 0xfffe
	s_or_b32 s25, s25, s26
	s_mov_b32 s27, -1
	s_or_b32 s23, s23, exec_lo
	s_wait_alu 0xfffe
	s_and_saveexec_b32 s26, s25
	s_cbranch_execz .LBB6_1135
.LBB6_1139:                             ;   in Loop: Header=BB6_1136 Depth=3
	s_sleep 1
	s_trap 2
	ds_load_b64 v[8:9], v0
	s_wait_dscnt 0x0
	global_inv scope:SCOPE_SE
	s_wait_alu 0xfffe
	s_and_not1_b32 s23, s23, exec_lo
	v_cmp_ge_u64_e32 vcc_lo, v[8:9], v[70:71]
	s_or_not1_b32 s27, vcc_lo, exec_lo
	s_branch .LBB6_1135
.LBB6_1140:                             ;   in Loop: Header=BB6_1013 Depth=2
	s_or_b32 exec_lo, exec_lo, s21
	s_wait_alu 0xfffe
	s_and_saveexec_b32 s21, s22
	s_wait_alu 0xfffe
	s_xor_b32 s21, exec_lo, s21
	s_cbranch_execz .LBB6_1142
; %bb.1141:                             ;   in Loop: Header=BB6_1013 Depth=2
	ds_store_b32 v0, v145
	s_trap 2
.LBB6_1142:                             ;   in Loop: Header=BB6_1013 Depth=2
	s_wait_alu 0xfffe
	s_or_b32 exec_lo, exec_lo, s20
	;;#ASMSTART
	s_wakeup
	;;#ASMEND
.LBB6_1143:                             ;   in Loop: Header=BB6_1013 Depth=2
	s_wait_alu 0xfffe
	s_or_b32 exec_lo, exec_lo, s19
.LBB6_1144:                             ;   in Loop: Header=BB6_1013 Depth=2
	s_wait_alu 0xfffe
	s_and_not1_saveexec_b32 s14, s14
	s_cbranch_execz .LBB6_1146
; %bb.1145:                             ;   in Loop: Header=BB6_1013 Depth=2
	;;#ASMSTART
	s_waitcnt lgkmcnt(0) vmcnt(0)
	;;#ASMEND
	s_barrier_signal -1
	s_barrier_wait -1
.LBB6_1146:                             ;   in Loop: Header=BB6_1013 Depth=2
	s_wait_alu 0xfffe
	s_or_b32 exec_lo, exec_lo, s14
.LBB6_1147:                             ;   in Loop: Header=BB6_1013 Depth=2
	s_wait_alu 0xfffe
	s_or_b32 exec_lo, exec_lo, s13
	v_and_b32_e32 v8, 32, v30
	s_mov_b32 s13, exec_lo
	s_delay_alu instid0(VALU_DEP_1)
	v_cmpx_ne_u32_e32 0, v8
	s_cbranch_execz .LBB6_1012
; %bb.1148:                             ;   in Loop: Header=BB6_1013 Depth=2
	v_add_co_u32 v96, vcc_lo, v96, 2
	s_wait_alu 0xfffd
	v_add_co_ci_u32_e64 v97, null, 0, v97, vcc_lo
	global_wb scope:SCOPE_SYS
	s_wait_storecnt 0x0
	s_wait_loadcnt_dscnt 0x0
	flat_store_b64 v[64:65], v[96:97] scope:SCOPE_SYS
	s_branch .LBB6_1012
.LBB6_1149:                             ;   in Loop: Header=BB6_47 Depth=1
	s_or_b32 exec_lo, exec_lo, s16
.LBB6_1150:                             ;   in Loop: Header=BB6_47 Depth=1
	s_wait_alu 0xfffe
	s_or_b32 exec_lo, exec_lo, s15
	s_delay_alu instid0(SALU_CYCLE_1)
	s_mov_b32 s14, exec_lo
	v_cmpx_gt_i32_e32 2, v10
	s_cbranch_execz .LBB6_46
; %bb.1151:                             ;   in Loop: Header=BB6_47 Depth=1
	v_cmp_eq_u32_e64 s16, 0, v10
	s_mov_b32 s15, 0
	s_branch .LBB6_1153
.LBB6_1152:                             ;   in Loop: Header=BB6_1153 Depth=2
	s_wait_alu 0xfffe
	s_or_b32 exec_lo, exec_lo, s13
	v_add_nc_u32_e32 v17, v16, v17
	s_mov_b32 s16, 0
	s_and_not1_b32 exec_lo, exec_lo, s15
	s_cbranch_execz .LBB6_45
.LBB6_1153:                             ;   Parent Loop BB6_47 Depth=1
                                        ; =>  This Loop Header: Depth=2
                                        ;       Child Loop BB6_1159 Depth 3
                                        ;       Child Loop BB6_1183 Depth 3
	;; [unrolled: 1-line block ×3, first 2 shown]
	v_and_b32_e32 v8, 4, v30
	s_mov_b32 s17, exec_lo
	s_delay_alu instid0(VALU_DEP_1)
	v_cmpx_ne_u32_e32 0, v8
	s_cbranch_execz .LBB6_1175
; %bb.1154:                             ;   in Loop: Header=BB6_1153 Depth=2
	v_add_co_u32 v8, vcc_lo, v96, 2
	s_wait_alu 0xfffd
	v_add_co_ci_u32_e64 v9, null, 0, v97, vcc_lo
	s_mov_b32 s18, exec_lo
	v_cmpx_lt_u64_e64 v[80:81], v[8:9]
	s_cbranch_execz .LBB6_1166
; %bb.1155:                             ;   in Loop: Header=BB6_1153 Depth=2
	v_and_b32_e32 v10, 64, v30
	s_mov_b32 s19, 0
	s_mov_b32 s23, 0
                                        ; implicit-def: $sgpr20
                                        ; implicit-def: $sgpr21
                                        ; implicit-def: $sgpr22
	s_delay_alu instid0(VALU_DEP_1)
	v_cmp_eq_u32_e32 vcc_lo, 0, v10
	s_branch .LBB6_1159
.LBB6_1156:                             ;   in Loop: Header=BB6_1159 Depth=3
	v_cmp_ge_u64_e64 s13, v[80:81], v[8:9]
	s_or_b32 s26, s26, exec_lo
	s_or_not1_b32 s25, s13, exec_lo
.LBB6_1157:                             ;   in Loop: Header=BB6_1159 Depth=3
	s_wait_alu 0xfffe
	s_or_b32 exec_lo, exec_lo, s28
	s_delay_alu instid0(SALU_CYCLE_1)
	s_and_not1_b32 s13, s22, exec_lo
	s_and_b32 s22, s26, exec_lo
	s_and_not1_b32 s21, s21, exec_lo
	s_and_b32 s25, s25, exec_lo
	s_wait_alu 0xfffe
	s_or_b32 s22, s13, s22
	s_or_b32 s21, s21, s25
.LBB6_1158:                             ;   in Loop: Header=BB6_1159 Depth=3
	s_wait_alu 0xfffe
	s_or_b32 exec_lo, exec_lo, s24
	s_delay_alu instid0(SALU_CYCLE_1)
	s_and_b32 s13, exec_lo, s21
	s_wait_alu 0xfffe
	s_or_b32 s19, s13, s19
	s_and_not1_b32 s13, s20, exec_lo
	s_and_b32 s20, s22, exec_lo
	s_wait_alu 0xfffe
	s_or_b32 s20, s13, s20
	s_and_not1_b32 exec_lo, exec_lo, s19
	s_cbranch_execz .LBB6_1163
.LBB6_1159:                             ;   Parent Loop BB6_47 Depth=1
                                        ;     Parent Loop BB6_1153 Depth=2
                                        ; =>    This Inner Loop Header: Depth=3
	s_sleep 1
	flat_load_b64 v[80:81], v[64:65] scope:SCOPE_SYS
	s_wait_loadcnt_dscnt 0x0
	global_inv scope:SCOPE_SYS
	s_or_b32 s22, s22, exec_lo
	s_or_b32 s21, s21, exec_lo
                                        ; implicit-def: $vgpr10
	s_and_saveexec_b32 s24, vcc_lo
	s_cbranch_execz .LBB6_1158
; %bb.1160:                             ;   in Loop: Header=BB6_1159 Depth=3
	s_wait_alu 0xfffe
	s_cmp_lt_i32 s23, 0x270f
	s_mov_b32 s25, -1
	s_cselect_b32 s27, -1, 0
	s_cmp_gt_i32 s23, 0x270e
	s_cbranch_scc0 .LBB6_1162
; %bb.1161:                             ;   in Loop: Header=BB6_1159 Depth=3
	s_trap 2
	ds_load_b64 v[10:11], v0
	s_wait_alu 0xfffe
	s_and_not1_b32 s23, s27, exec_lo
	s_mov_b32 s26, 0
	s_wait_storecnt 0x0
	s_wait_loadcnt_dscnt 0x0
	flat_load_b32 v10, v[10:11] scope:SCOPE_SYS
	s_wait_loadcnt_dscnt 0x0
	global_inv scope:SCOPE_SYS
	v_cmp_eq_u32_e64 s13, 0, v10
	s_and_b32 s13, s13, exec_lo
	s_wait_alu 0xfffe
	s_or_b32 s27, s23, s13
	s_mov_b32 s23, 0
	s_wait_alu 0xfffe
	s_and_saveexec_b32 s28, s27
	s_cbranch_execz .LBB6_1157
	s_branch .LBB6_1156
.LBB6_1162:                             ;   in Loop: Header=BB6_1159 Depth=3
	s_add_co_i32 s23, s23, 1
	s_mov_b32 s26, -1
                                        ; implicit-def: $vgpr10
	s_wait_alu 0xfffe
	s_and_saveexec_b32 s28, s27
	s_cbranch_execz .LBB6_1157
	s_branch .LBB6_1156
.LBB6_1163:                             ;   in Loop: Header=BB6_1153 Depth=2
	s_or_b32 exec_lo, exec_lo, s19
	s_wait_alu 0xfffe
	s_xor_b32 s13, s20, -1
	s_wait_alu 0xfffe
	s_and_saveexec_b32 s19, s13
	s_wait_alu 0xfffe
	s_xor_b32 s13, exec_lo, s19
	s_cbranch_execz .LBB6_1165
; %bb.1164:                             ;   in Loop: Header=BB6_1153 Depth=2
	v_or_b32_e32 v30, 64, v30
	s_wait_loadcnt 0x0
	s_wait_storecnt 0x0
	ds_store_b32 v0, v10
	s_trap 2
.LBB6_1165:                             ;   in Loop: Header=BB6_1153 Depth=2
	s_wait_alu 0xfffe
	s_or_b32 exec_lo, exec_lo, s13
.LBB6_1166:                             ;   in Loop: Header=BB6_1153 Depth=2
	s_wait_alu 0xfffe
	s_or_b32 exec_lo, exec_lo, s18
	v_and_b32_e32 v10, 0x100, v30
	v_and_b32_e32 v14, 7, v96
	s_mov_b32 s13, -1
	;;#ASMSTART
	s_wakeup
	;;#ASMEND
	s_delay_alu instid0(VALU_DEP_2)
	v_cmp_ne_u32_e32 vcc_lo, 0, v10
                                        ; implicit-def: $vgpr10_vgpr11
	s_and_saveexec_b32 s18, vcc_lo
	s_cbranch_execz .LBB6_1170
; %bb.1167:                             ;   in Loop: Header=BB6_1153 Depth=2
	v_mad_co_u64_u32 v[12:13], null, v14, 24, v[6:7]
	flat_load_b32 v10, v[12:13]
	s_wait_loadcnt_dscnt 0x0
	v_cmp_eq_u32_e64 s13, 1, v10
	v_cmp_ne_u32_e32 vcc_lo, 1, v10
                                        ; implicit-def: $vgpr10_vgpr11
	s_wait_alu 0xfffe
	s_and_saveexec_b32 s19, s13
	s_cbranch_execz .LBB6_1169
; %bb.1168:                             ;   in Loop: Header=BB6_1153 Depth=2
	flat_load_b32 v10, v[12:13] offset:4 scope:SCOPE_SYS
	s_wait_loadcnt_dscnt 0x0
	v_ashrrev_i32_e32 v11, 31, v10
.LBB6_1169:                             ;   in Loop: Header=BB6_1153 Depth=2
	s_wait_alu 0xfffe
	s_or_b32 exec_lo, exec_lo, s19
	s_delay_alu instid0(SALU_CYCLE_1)
	s_or_not1_b32 s13, vcc_lo, exec_lo
.LBB6_1170:                             ;   in Loop: Header=BB6_1153 Depth=2
	s_wait_alu 0xfffe
	s_or_b32 exec_lo, exec_lo, s18
	s_and_saveexec_b32 s18, s13
; %bb.1171:                             ;   in Loop: Header=BB6_1153 Depth=2
	v_mad_co_i64_i32 v[10:11], null, v14, v132, 0
; %bb.1172:                             ;   in Loop: Header=BB6_1153 Depth=2
	s_wait_alu 0xfffe
	s_or_b32 exec_lo, exec_lo, s18
	s_delay_alu instid0(VALU_DEP_1) | instskip(SKIP_2) | instid1(VALU_DEP_3)
	v_add_co_u32 v10, vcc_lo, v66, v10
	v_and_b32_e32 v12, 0x2000, v30
	s_wait_alu 0xfffd
	v_add_co_ci_u32_e64 v11, null, v67, v11, vcc_lo
	s_mov_b32 s13, exec_lo
	ds_store_b64 v0, v[10:11] offset:720
	v_cmpx_ne_u32_e32 0, v12
	s_cbranch_execz .LBB6_1174
; %bb.1173:                             ;   in Loop: Header=BB6_1153 Depth=2
	ds_load_b64 v[10:11], v0 offset:872
	s_wait_dscnt 0x0
	v_add_co_u32 v10, vcc_lo, v10, 1
	s_wait_alu 0xfffd
	v_add_co_ci_u32_e64 v11, null, 0, v11, vcc_lo
	ds_store_b64 v0, v[10:11] offset:872
.LBB6_1174:                             ;   in Loop: Header=BB6_1153 Depth=2
	s_wait_alu 0xfffe
	s_or_b32 exec_lo, exec_lo, s13
	v_dual_mov_b32 v97, v9 :: v_dual_mov_b32 v96, v8
.LBB6_1175:                             ;   in Loop: Header=BB6_1153 Depth=2
	s_wait_alu 0xfffe
	s_or_b32 exec_lo, exec_lo, s17
	s_xor_b32 s13, s16, -1
	s_wait_alu 0xfffe
	s_and_b32 s13, exec_lo, s13
	s_wait_alu 0xfffe
	s_or_b32 s15, s13, s15
	s_and_saveexec_b32 s13, s2
	s_cbranch_execz .LBB6_1194
; %bb.1176:                             ;   in Loop: Header=BB6_1153 Depth=2
	s_and_saveexec_b32 s16, s3
	s_wait_alu 0xfffe
	s_xor_b32 s16, exec_lo, s16
	s_cbranch_execz .LBB6_1191
; %bb.1177:                             ;   in Loop: Header=BB6_1153 Depth=2
	s_and_saveexec_b32 s17, s6
	s_cbranch_execz .LBB6_1190
; %bb.1178:                             ;   in Loop: Header=BB6_1153 Depth=2
	s_mov_b32 s19, exec_lo
	s_mov_b32 s18, exec_lo
	s_wait_alu 0xfffe
	v_mbcnt_lo_u32_b32 v8, s19, 0
	s_wait_storecnt 0x0
	s_wait_loadcnt_dscnt 0x0
	global_inv scope:SCOPE_DEV
	v_cmpx_eq_u32_e32 0, v8
	s_cbranch_execz .LBB6_1180
; %bb.1179:                             ;   in Loop: Header=BB6_1153 Depth=2
	s_bcnt1_i32_b32 s19, s19
	s_wait_alu 0xfffe
	v_dual_mov_b32 v9, v2 :: v_dual_mov_b32 v8, s19
	s_wait_loadcnt 0x0
	ds_add_u64 v0, v[8:9]
	s_trap 2
.LBB6_1180:                             ;   in Loop: Header=BB6_1153 Depth=2
	s_or_b32 exec_lo, exec_lo, s18
	s_trap 2
	ds_load_b64 v[8:9], v0
	s_wait_dscnt 0x0
	global_inv scope:SCOPE_SE
	v_add_co_u32 v70, vcc_lo, v70, v135
	s_wait_alu 0xfffd
	v_add_co_ci_u32_e64 v71, null, 0, v71, vcc_lo
	s_mov_b32 s18, exec_lo
	v_cmpx_lt_u64_e64 v[8:9], v[70:71]
	s_cbranch_execz .LBB6_1189
; %bb.1181:                             ;   in Loop: Header=BB6_1153 Depth=2
	s_mov_b32 s19, 0
	s_mov_b32 s22, 0
                                        ; implicit-def: $sgpr20
                                        ; implicit-def: $sgpr21
	s_branch .LBB6_1183
.LBB6_1182:                             ;   in Loop: Header=BB6_1183 Depth=3
	s_wait_alu 0xfffe
	s_or_b32 exec_lo, exec_lo, s24
	s_delay_alu instid0(SALU_CYCLE_1)
	s_and_b32 s23, exec_lo, s25
	s_wait_alu 0xfffe
	s_or_b32 s19, s23, s19
	s_and_not1_b32 s20, s20, exec_lo
	s_and_b32 s23, s21, exec_lo
	s_wait_alu 0xfffe
	s_or_b32 s20, s20, s23
	s_and_not1_b32 exec_lo, exec_lo, s19
	s_cbranch_execz .LBB6_1187
.LBB6_1183:                             ;   Parent Loop BB6_47 Depth=1
                                        ;     Parent Loop BB6_1153 Depth=2
                                        ; =>    This Inner Loop Header: Depth=3
	s_wait_alu 0xfffe
	s_add_co_i32 s22, s22, 1
	s_wait_alu 0xfffe
	s_cmp_lg_u32 s22, 0x2710
	s_cselect_b32 s23, -1, 0
	s_wait_alu 0xfffe
	s_and_b32 vcc_lo, exec_lo, s23
	s_wait_alu 0xfffe
	s_cbranch_vccz .LBB6_1185
; %bb.1184:                             ;   in Loop: Header=BB6_1183 Depth=3
	s_mov_b32 s25, -1
	s_or_b32 s21, s21, exec_lo
	s_and_saveexec_b32 s24, s23
	s_cbranch_execz .LBB6_1182
	s_branch .LBB6_1186
.LBB6_1185:                             ;   in Loop: Header=BB6_1183 Depth=3
	s_trap 2
	ds_load_b64 v[8:9], v0
	s_and_not1_b32 s23, s23, exec_lo
	s_mov_b32 s22, 0
	s_wait_loadcnt_dscnt 0x0
	flat_load_b32 v8, v[8:9] scope:SCOPE_SYS
	s_wait_loadcnt_dscnt 0x0
	global_inv scope:SCOPE_SYS
	v_cmp_eq_u32_e32 vcc_lo, 0, v8
	s_and_b32 s24, vcc_lo, exec_lo
	s_wait_alu 0xfffe
	s_or_b32 s23, s23, s24
	s_mov_b32 s25, -1
	s_or_b32 s21, s21, exec_lo
	s_wait_alu 0xfffe
	s_and_saveexec_b32 s24, s23
	s_cbranch_execz .LBB6_1182
.LBB6_1186:                             ;   in Loop: Header=BB6_1183 Depth=3
	s_sleep 1
	s_trap 2
	ds_load_b64 v[8:9], v0
	s_wait_dscnt 0x0
	global_inv scope:SCOPE_SE
	s_wait_alu 0xfffe
	s_and_not1_b32 s21, s21, exec_lo
	v_cmp_ge_u64_e32 vcc_lo, v[8:9], v[70:71]
	s_or_not1_b32 s25, vcc_lo, exec_lo
	s_branch .LBB6_1182
.LBB6_1187:                             ;   in Loop: Header=BB6_1153 Depth=2
	s_or_b32 exec_lo, exec_lo, s19
	s_wait_alu 0xfffe
	s_and_saveexec_b32 s19, s20
	s_wait_alu 0xfffe
	s_xor_b32 s19, exec_lo, s19
	s_cbranch_execz .LBB6_1189
; %bb.1188:                             ;   in Loop: Header=BB6_1153 Depth=2
	ds_store_b32 v0, v145
	s_trap 2
.LBB6_1189:                             ;   in Loop: Header=BB6_1153 Depth=2
	s_wait_alu 0xfffe
	s_or_b32 exec_lo, exec_lo, s18
	;;#ASMSTART
	s_wakeup
	;;#ASMEND
.LBB6_1190:                             ;   in Loop: Header=BB6_1153 Depth=2
	s_wait_alu 0xfffe
	s_or_b32 exec_lo, exec_lo, s17
.LBB6_1191:                             ;   in Loop: Header=BB6_1153 Depth=2
	s_wait_alu 0xfffe
	s_and_not1_saveexec_b32 s16, s16
	s_cbranch_execz .LBB6_1193
; %bb.1192:                             ;   in Loop: Header=BB6_1153 Depth=2
	s_wait_storecnt 0x0
	s_wait_loadcnt_dscnt 0x0
	global_inv scope:SCOPE_DEV
	s_barrier_signal -1
	s_barrier_wait -1
.LBB6_1193:                             ;   in Loop: Header=BB6_1153 Depth=2
	s_wait_alu 0xfffe
	s_or_b32 exec_lo, exec_lo, s16
.LBB6_1194:                             ;   in Loop: Header=BB6_1153 Depth=2
	s_wait_alu 0xfffe
	s_or_b32 exec_lo, exec_lo, s13
	v_sub_nc_u32_e32 v8, v3, v17
	s_delay_alu instid0(VALU_DEP_1)
	v_min_i32_e32 v16, v16, v8
	s_and_saveexec_b32 s13, s10
	s_wait_alu 0xfffe
	s_xor_b32 s16, exec_lo, s13
	s_cbranch_execz .LBB6_1198
; %bb.1195:                             ;   in Loop: Header=BB6_1153 Depth=2
	s_trap 2
	ds_load_b32 v8, v0
	v_cmp_lt_i32_e32 vcc_lo, 0, v16
	s_wait_dscnt 0x0
	v_readfirstlane_b32 s13, v8
	v_and_b32_e32 v8, 16, v30
	s_cmp_eq_u32 s13, 0
	s_delay_alu instid0(VALU_DEP_1)
	v_cmp_ne_u32_e64 s13, 0, v8
	s_cselect_b32 s17, -1, 0
	s_wait_alu 0xfffe
	s_and_b32 s17, vcc_lo, s17
	s_wait_alu 0xfffe
	s_and_b32 s17, s13, s17
	s_wait_alu 0xfffe
	s_and_saveexec_b32 s13, s17
	s_cbranch_execz .LBB6_1197
; %bb.1196:                             ;   in Loop: Header=BB6_1153 Depth=2
	global_wb scope:SCOPE_SYS
	s_wait_loadcnt 0x0
	s_wait_storecnt 0x0
	global_inv scope:SCOPE_SYS
.LBB6_1197:                             ;   in Loop: Header=BB6_1153 Depth=2
	s_wait_alu 0xfffe
	s_or_b32 exec_lo, exec_lo, s13
.LBB6_1198:                             ;   in Loop: Header=BB6_1153 Depth=2
	s_wait_alu 0xfffe
	s_and_not1_saveexec_b32 s13, s16
	s_cbranch_execz .LBB6_1217
; %bb.1199:                             ;   in Loop: Header=BB6_1153 Depth=2
	s_and_saveexec_b32 s16, s3
	s_wait_alu 0xfffe
	s_xor_b32 s16, exec_lo, s16
	s_cbranch_execz .LBB6_1214
; %bb.1200:                             ;   in Loop: Header=BB6_1153 Depth=2
	s_and_saveexec_b32 s17, s6
	s_cbranch_execz .LBB6_1213
; %bb.1201:                             ;   in Loop: Header=BB6_1153 Depth=2
	s_mov_b32 s19, exec_lo
	s_mov_b32 s18, exec_lo
	s_wait_alu 0xfffe
	v_mbcnt_lo_u32_b32 v8, s19, 0
	;;#ASMSTART
	s_waitcnt lgkmcnt(0) vmcnt(0)
	;;#ASMEND
	s_delay_alu instid0(VALU_DEP_1)
	v_cmpx_eq_u32_e32 0, v8
	s_cbranch_execz .LBB6_1203
; %bb.1202:                             ;   in Loop: Header=BB6_1153 Depth=2
	s_bcnt1_i32_b32 s19, s19
	s_wait_alu 0xfffe
	v_dual_mov_b32 v9, v2 :: v_dual_mov_b32 v8, s19
	s_wait_storecnt 0x0
	s_wait_loadcnt_dscnt 0x0
	ds_add_u64 v0, v[8:9]
	s_trap 2
.LBB6_1203:                             ;   in Loop: Header=BB6_1153 Depth=2
	s_or_b32 exec_lo, exec_lo, s18
	s_trap 2
	ds_load_b64 v[8:9], v0
	s_wait_dscnt 0x0
	global_inv scope:SCOPE_SE
	v_add_co_u32 v70, vcc_lo, v70, v135
	s_wait_alu 0xfffd
	v_add_co_ci_u32_e64 v71, null, 0, v71, vcc_lo
	s_mov_b32 s18, exec_lo
	v_cmpx_lt_u64_e64 v[8:9], v[70:71]
	s_cbranch_execz .LBB6_1212
; %bb.1204:                             ;   in Loop: Header=BB6_1153 Depth=2
	s_mov_b32 s19, 0
	s_mov_b32 s22, 0
                                        ; implicit-def: $sgpr20
                                        ; implicit-def: $sgpr21
	s_branch .LBB6_1206
.LBB6_1205:                             ;   in Loop: Header=BB6_1206 Depth=3
	s_wait_alu 0xfffe
	s_or_b32 exec_lo, exec_lo, s24
	s_delay_alu instid0(SALU_CYCLE_1)
	s_and_b32 s23, exec_lo, s25
	s_wait_alu 0xfffe
	s_or_b32 s19, s23, s19
	s_and_not1_b32 s20, s20, exec_lo
	s_and_b32 s23, s21, exec_lo
	s_wait_alu 0xfffe
	s_or_b32 s20, s20, s23
	s_and_not1_b32 exec_lo, exec_lo, s19
	s_cbranch_execz .LBB6_1210
.LBB6_1206:                             ;   Parent Loop BB6_47 Depth=1
                                        ;     Parent Loop BB6_1153 Depth=2
                                        ; =>    This Inner Loop Header: Depth=3
	s_wait_alu 0xfffe
	s_add_co_i32 s22, s22, 1
	s_wait_alu 0xfffe
	s_cmp_lg_u32 s22, 0x2710
	s_cselect_b32 s23, -1, 0
	s_wait_alu 0xfffe
	s_and_b32 vcc_lo, exec_lo, s23
	s_wait_alu 0xfffe
	s_cbranch_vccz .LBB6_1208
; %bb.1207:                             ;   in Loop: Header=BB6_1206 Depth=3
	s_mov_b32 s25, -1
	s_or_b32 s21, s21, exec_lo
	s_and_saveexec_b32 s24, s23
	s_cbranch_execz .LBB6_1205
	s_branch .LBB6_1209
.LBB6_1208:                             ;   in Loop: Header=BB6_1206 Depth=3
	s_trap 2
	ds_load_b64 v[8:9], v0
	s_and_not1_b32 s23, s23, exec_lo
	s_mov_b32 s22, 0
	s_wait_storecnt 0x0
	s_wait_loadcnt_dscnt 0x0
	flat_load_b32 v8, v[8:9] scope:SCOPE_SYS
	s_wait_loadcnt_dscnt 0x0
	global_inv scope:SCOPE_SYS
	v_cmp_eq_u32_e32 vcc_lo, 0, v8
	s_and_b32 s24, vcc_lo, exec_lo
	s_wait_alu 0xfffe
	s_or_b32 s23, s23, s24
	s_mov_b32 s25, -1
	s_or_b32 s21, s21, exec_lo
	s_wait_alu 0xfffe
	s_and_saveexec_b32 s24, s23
	s_cbranch_execz .LBB6_1205
.LBB6_1209:                             ;   in Loop: Header=BB6_1206 Depth=3
	s_sleep 1
	s_trap 2
	ds_load_b64 v[8:9], v0
	s_wait_dscnt 0x0
	global_inv scope:SCOPE_SE
	s_wait_alu 0xfffe
	s_and_not1_b32 s21, s21, exec_lo
	v_cmp_ge_u64_e32 vcc_lo, v[8:9], v[70:71]
	s_or_not1_b32 s25, vcc_lo, exec_lo
	s_branch .LBB6_1205
.LBB6_1210:                             ;   in Loop: Header=BB6_1153 Depth=2
	s_or_b32 exec_lo, exec_lo, s19
	s_wait_alu 0xfffe
	s_and_saveexec_b32 s19, s20
	s_wait_alu 0xfffe
	s_xor_b32 s19, exec_lo, s19
	s_cbranch_execz .LBB6_1212
; %bb.1211:                             ;   in Loop: Header=BB6_1153 Depth=2
	ds_store_b32 v0, v145
	s_trap 2
.LBB6_1212:                             ;   in Loop: Header=BB6_1153 Depth=2
	s_wait_alu 0xfffe
	s_or_b32 exec_lo, exec_lo, s18
	;;#ASMSTART
	s_wakeup
	;;#ASMEND
.LBB6_1213:                             ;   in Loop: Header=BB6_1153 Depth=2
	s_wait_alu 0xfffe
	s_or_b32 exec_lo, exec_lo, s17
.LBB6_1214:                             ;   in Loop: Header=BB6_1153 Depth=2
	s_wait_alu 0xfffe
	s_and_not1_saveexec_b32 s16, s16
	s_cbranch_execz .LBB6_1216
; %bb.1215:                             ;   in Loop: Header=BB6_1153 Depth=2
	;;#ASMSTART
	s_waitcnt lgkmcnt(0) vmcnt(0)
	;;#ASMEND
	s_barrier_signal -1
	s_barrier_wait -1
.LBB6_1216:                             ;   in Loop: Header=BB6_1153 Depth=2
	s_wait_alu 0xfffe
	s_or_b32 exec_lo, exec_lo, s16
.LBB6_1217:                             ;   in Loop: Header=BB6_1153 Depth=2
	s_wait_alu 0xfffe
	s_or_b32 exec_lo, exec_lo, s13
	v_and_b32_e32 v8, 32, v30
	s_mov_b32 s13, exec_lo
	s_delay_alu instid0(VALU_DEP_1)
	v_cmpx_ne_u32_e32 0, v8
	s_cbranch_execz .LBB6_1152
; %bb.1218:                             ;   in Loop: Header=BB6_1153 Depth=2
	v_add_co_u32 v96, vcc_lo, v96, 2
	s_wait_alu 0xfffd
	v_add_co_ci_u32_e64 v97, null, 0, v97, vcc_lo
	global_wb scope:SCOPE_SYS
	s_wait_storecnt 0x0
	s_wait_loadcnt_dscnt 0x0
	flat_store_b64 v[64:65], v[96:97] scope:SCOPE_SYS
	s_branch .LBB6_1152
.LBB6_1219:
	s_or_b32 exec_lo, exec_lo, s34
.LBB6_1220:
	s_wait_alu 0xfffe
	s_or_b32 exec_lo, exec_lo, s79
	v_and_b32_e32 v0, 0x800, v30
	s_mov_b32 s1, exec_lo
	s_delay_alu instid0(VALU_DEP_1)
	v_cmpx_eq_u32_e32 0, v0
	s_cbranch_execz .LBB6_1253
; %bb.1221:
	v_and_b32_e32 v0, 48, v30
	s_mov_b32 s0, exec_lo
	s_delay_alu instid0(VALU_DEP_1)
	v_cmpx_ne_u32_e32 0, v0
	s_cbranch_execz .LBB6_1223
; %bb.1222:
	flat_store_b64 v[54:55], v[96:97] offset:104
.LBB6_1223:
	s_wait_alu 0xfffe
	s_or_b32 exec_lo, exec_lo, s0
	v_and_b32_e32 v0, 0x88, v30
	s_mov_b32 s2, exec_lo
	s_delay_alu instid0(VALU_DEP_1)
	v_cmpx_eq_u32_e32 0x88, v0
	s_cbranch_execz .LBB6_1233
; %bb.1224:
	v_add_nc_u32_e32 v0, 6, v96
	s_mov_b32 s3, 0
	s_delay_alu instid0(VALU_DEP_1) | instskip(NEXT) | instid1(VALU_DEP_1)
	v_and_b32_e32 v0, 7, v0
	v_mad_co_u64_u32 v[2:3], null, v0, 24, v[6:7]
	v_and_b32_e32 v0, 64, v30
	s_delay_alu instid0(VALU_DEP_1)
	v_cmp_eq_u32_e64 s0, 0, v0
	flat_load_b64 v[4:5], v[2:3] offset:8 scope:SCOPE_SYS
	s_wait_loadcnt_dscnt 0x0
	v_cmp_ne_u64_e32 vcc_lo, -1, v[4:5]
	s_and_b32 s0, vcc_lo, s0
	s_wait_alu 0xfffe
	s_and_b32 exec_lo, exec_lo, s0
	s_cbranch_execz .LBB6_1233
; %bb.1225:
	s_mov_b32 s5, 0
                                        ; implicit-def: $sgpr0
                                        ; implicit-def: $sgpr4
	s_branch .LBB6_1228
.LBB6_1226:                             ;   in Loop: Header=BB6_1228 Depth=1
	flat_load_b64 v[4:5], v[2:3] offset:8 scope:SCOPE_SYS
	s_wait_loadcnt 0x0
	s_wait_alu 0xfffe
	s_and_not1_b32 s4, s4, exec_lo
	s_wait_dscnt 0x0
	v_cmp_eq_u64_e32 vcc_lo, -1, v[4:5]
	s_or_not1_b32 s7, vcc_lo, exec_lo
.LBB6_1227:                             ;   in Loop: Header=BB6_1228 Depth=1
	s_wait_alu 0xfffe
	s_or_b32 exec_lo, exec_lo, s10
	s_delay_alu instid0(SALU_CYCLE_1)
	s_and_b32 s6, exec_lo, s7
	s_wait_alu 0xfffe
	s_or_b32 s3, s6, s3
	s_and_not1_b32 s0, s0, exec_lo
	s_and_b32 s6, s4, exec_lo
	s_wait_alu 0xfffe
	s_or_b32 s0, s0, s6
	s_and_not1_b32 exec_lo, exec_lo, s3
	s_cbranch_execz .LBB6_1231
.LBB6_1228:                             ; =>This Inner Loop Header: Depth=1
	s_wait_alu 0xfffe
	s_cmp_lt_i32 s5, 0x270f
	s_cselect_b32 s6, -1, 0
	s_wait_alu 0xfffe
	s_and_b32 vcc_lo, exec_lo, s6
	s_wait_alu 0xfffe
	s_cbranch_vccnz .LBB6_1230
; %bb.1229:                             ;   in Loop: Header=BB6_1228 Depth=1
	s_trap 2
	ds_load_b64 v[4:5], v0
	s_and_not1_b32 s6, s6, exec_lo
	s_mov_b32 s5, 0
	s_wait_storecnt_dscnt 0x0
	flat_load_b32 v0, v[4:5] scope:SCOPE_SYS
	s_wait_loadcnt_dscnt 0x0
	global_inv scope:SCOPE_SYS
	v_cmp_eq_u32_e32 vcc_lo, 0, v0
	s_and_b32 s7, vcc_lo, exec_lo
	s_wait_alu 0xfffe
	s_or_b32 s6, s6, s7
	s_mov_b32 s7, -1
	s_or_b32 s4, s4, exec_lo
	s_wait_alu 0xfffe
	s_and_saveexec_b32 s10, s6
	s_cbranch_execz .LBB6_1227
	s_branch .LBB6_1226
.LBB6_1230:                             ;   in Loop: Header=BB6_1228 Depth=1
	s_add_co_i32 s5, s5, 1
                                        ; implicit-def: $vgpr0
	s_mov_b32 s7, -1
	s_or_b32 s4, s4, exec_lo
	s_and_saveexec_b32 s10, s6
	s_cbranch_execz .LBB6_1227
	s_branch .LBB6_1226
.LBB6_1231:
	s_or_b32 exec_lo, exec_lo, s3
	s_wait_alu 0xfffe
	s_and_saveexec_b32 s3, s0
	s_wait_alu 0xfffe
	s_xor_b32 s3, exec_lo, s3
	s_cbranch_execz .LBB6_1233
; %bb.1232:
	s_wait_loadcnt 0x0
	s_wait_storecnt 0x0
	ds_store_b32 v0, v0
	s_trap 2
.LBB6_1233:
	s_wait_alu 0xfffe
	s_or_b32 exec_lo, exec_lo, s2
	v_and_b32_e32 v0, 0x2000, v30
	s_mov_b32 s0, exec_lo
	s_delay_alu instid0(VALU_DEP_1)
	v_cmpx_ne_u32_e32 0, v0
	s_cbranch_execz .LBB6_1235
; %bb.1234:
	s_trap 2
	ds_load_b64 v[2:3], v0
	s_wait_dscnt 0x0
	flat_store_b64 v[52:53], v[2:3] offset:16
.LBB6_1235:
	s_wait_alu 0xfffe
	s_or_b32 exec_lo, exec_lo, s0
	v_cmp_ne_u32_e32 vcc_lo, 32, v1
	s_and_b32 exec_lo, exec_lo, vcc_lo
	s_cbranch_execz .LBB6_1253
; %bb.1236:
	s_mov_b32 s0, exec_lo
	v_cmpx_ne_u32_e64 v1, v133
	s_wait_alu 0xfffe
	s_xor_b32 s0, exec_lo, s0
	s_cbranch_execz .LBB6_1251
; %bb.1237:
	v_and_b32_e32 v0, 31, v31
	s_mov_b32 s2, exec_lo
	s_delay_alu instid0(VALU_DEP_1)
	v_cmpx_eq_u32_e32 0, v0
	s_cbranch_execz .LBB6_1250
; %bb.1238:
	s_mov_b32 s4, exec_lo
	s_mov_b32 s3, exec_lo
	s_wait_alu 0xfffe
	v_mbcnt_lo_u32_b32 v0, s4, 0
	s_wait_storecnt 0x0
	s_wait_loadcnt_dscnt 0x0
	global_inv scope:SCOPE_DEV
	v_cmpx_eq_u32_e32 0, v0
	s_cbranch_execz .LBB6_1240
; %bb.1239:
	s_bcnt1_i32_b32 s4, s4
	s_wait_alu 0xfffe
	v_dual_mov_b32 v3, 0 :: v_dual_mov_b32 v2, s4
	s_wait_loadcnt 0x0
	ds_add_u64 v0, v[2:3]
	s_trap 2
.LBB6_1240:
	s_or_b32 exec_lo, exec_lo, s3
	s_trap 2
	ds_load_b64 v[2:3], v0
	s_wait_dscnt 0x0
	global_inv scope:SCOPE_SE
	v_lshrrev_b32_e32 v0, 5, v1
	s_mov_b32 s3, exec_lo
	s_delay_alu instid0(VALU_DEP_1) | instskip(SKIP_2) | instid1(VALU_DEP_1)
	v_add_co_u32 v0, vcc_lo, v70, v0
	s_wait_alu 0xfffd
	v_add_co_ci_u32_e64 v1, null, 0, v71, vcc_lo
	v_cmpx_lt_u64_e64 v[2:3], v[0:1]
	s_cbranch_execz .LBB6_1249
; %bb.1241:
	s_mov_b32 s4, 0
	s_mov_b32 s7, 0
                                        ; implicit-def: $sgpr5
                                        ; implicit-def: $sgpr6
	s_branch .LBB6_1243
.LBB6_1242:                             ;   in Loop: Header=BB6_1243 Depth=1
	s_wait_alu 0xfffe
	s_or_b32 exec_lo, exec_lo, s11
	s_delay_alu instid0(SALU_CYCLE_1)
	s_and_b32 s10, exec_lo, s12
	s_wait_alu 0xfffe
	s_or_b32 s4, s10, s4
	s_and_not1_b32 s5, s5, exec_lo
	s_and_b32 s10, s6, exec_lo
	s_wait_alu 0xfffe
	s_or_b32 s5, s5, s10
	s_and_not1_b32 exec_lo, exec_lo, s4
	s_cbranch_execz .LBB6_1247
.LBB6_1243:                             ; =>This Inner Loop Header: Depth=1
	s_wait_alu 0xfffe
	s_add_co_i32 s7, s7, 1
	s_wait_alu 0xfffe
	s_cmp_lg_u32 s7, 0x2710
	s_cselect_b32 s10, -1, 0
	s_wait_alu 0xfffe
	s_and_b32 vcc_lo, exec_lo, s10
	s_wait_alu 0xfffe
	s_cbranch_vccz .LBB6_1245
; %bb.1244:                             ;   in Loop: Header=BB6_1243 Depth=1
	s_mov_b32 s12, -1
	s_or_b32 s6, s6, exec_lo
	s_and_saveexec_b32 s11, s10
	s_cbranch_execz .LBB6_1242
	s_branch .LBB6_1246
.LBB6_1245:                             ;   in Loop: Header=BB6_1243 Depth=1
	s_trap 2
	ds_load_b64 v[2:3], v0
	s_and_not1_b32 s10, s10, exec_lo
	s_mov_b32 s7, 0
	s_wait_loadcnt_dscnt 0x0
	flat_load_b32 v2, v[2:3] scope:SCOPE_SYS
	s_wait_loadcnt_dscnt 0x0
	global_inv scope:SCOPE_SYS
	v_cmp_eq_u32_e32 vcc_lo, 0, v2
	s_and_b32 s11, vcc_lo, exec_lo
	s_wait_alu 0xfffe
	s_or_b32 s10, s10, s11
	s_mov_b32 s12, -1
	s_or_b32 s6, s6, exec_lo
	s_wait_alu 0xfffe
	s_and_saveexec_b32 s11, s10
	s_cbranch_execz .LBB6_1242
.LBB6_1246:                             ;   in Loop: Header=BB6_1243 Depth=1
	s_sleep 1
	s_trap 2
	ds_load_b64 v[2:3], v0
	s_wait_dscnt 0x0
	global_inv scope:SCOPE_SE
	s_wait_alu 0xfffe
	s_and_not1_b32 s6, s6, exec_lo
	v_cmp_ge_u64_e32 vcc_lo, v[2:3], v[0:1]
	s_or_not1_b32 s12, vcc_lo, exec_lo
	s_branch .LBB6_1242
.LBB6_1247:
	s_or_b32 exec_lo, exec_lo, s4
	s_wait_alu 0xfffe
	s_and_saveexec_b32 s4, s5
	s_wait_alu 0xfffe
	s_xor_b32 s4, exec_lo, s4
	s_cbranch_execz .LBB6_1249
; %bb.1248:
	v_mov_b32_e32 v0, 1
	ds_store_b32 v0, v0
	s_trap 2
.LBB6_1249:
	s_wait_alu 0xfffe
	s_or_b32 exec_lo, exec_lo, s3
	;;#ASMSTART
	s_wakeup
	;;#ASMEND
.LBB6_1250:
	s_wait_alu 0xfffe
	s_or_b32 exec_lo, exec_lo, s2
.LBB6_1251:
	s_wait_alu 0xfffe
	s_and_not1_saveexec_b32 s0, s0
	s_cbranch_execz .LBB6_1253
; %bb.1252:
	s_wait_storecnt 0x0
	s_wait_loadcnt_dscnt 0x0
	global_inv scope:SCOPE_DEV
	s_barrier_signal -1
	s_barrier_wait -1
.LBB6_1253:
	s_wait_alu 0xfffe
	s_or_b32 exec_lo, exec_lo, s1
.LBB6_1254:
	s_wait_alu 0xfffe
	s_and_not1_saveexec_b32 s21, s78
	s_cbranch_execz .LBB6_1256
; %bb.1255:
	s_getpc_b64 s[0:1]
	s_wait_alu 0xfffe
	s_sext_i32_i16 s1, s1
	s_add_co_u32 s0, s0, __PRETTY_FUNCTION__._ZN10PrimitivesI14__hip_fp8_e5m28FuncProdIS0_E12FanSymmetricILi1EELi0E11ProtoSimpleILi2ELi2ELi0ELi4ELi0ELi0EELi0ELb0ELi0ELi0ELi0EEC2EiiPKiS9_PKvPvmhhhP15ncclDevWorkCollP14ncclDevWorkP2pii@rel32@lo+12
	s_wait_alu 0xfffe
	s_add_co_ci_u32 s1, s1, __PRETTY_FUNCTION__._ZN10PrimitivesI14__hip_fp8_e5m28FuncProdIS0_E12FanSymmetricILi1EELi0E11ProtoSimpleILi2ELi2ELi0ELi4ELi0ELi0EELi0ELb0ELi0ELi0ELi0EEC2EiiPKiS9_PKvPvmhhhP15ncclDevWorkCollP14ncclDevWorkP2pii@rel32@hi+24
	s_wait_alu 0xfffe
	v_dual_mov_b32 v0, s0 :: v_dual_mov_b32 v1, s1
	s_getpc_b64 s[2:3]
	s_wait_alu 0xfffe
	s_sext_i32_i16 s3, s3
	s_add_co_u32 s2, s2, __assert_fail@rel32@lo+12
	s_wait_alu 0xfffe
	s_add_co_ci_u32 s3, s3, __assert_fail@rel32@hi+24
	s_wait_alu 0xfffe
	s_swappc_b64 s[30:31], s[2:3]
	; divergent unreachable
.LBB6_1256:
	s_wait_alu 0xfffe
	s_or_b32 exec_lo, exec_lo, s21
	s_clause 0x1f
	scratch_load_b32 v174, off, s33
	scratch_load_b32 v173, off, s33 offset:4
	scratch_load_b32 v172, off, s33 offset:8
	;; [unrolled: 1-line block ×31, first 2 shown]
	s_clause 0x1f
	scratch_load_b32 v110, off, s33 offset:128
	scratch_load_b32 v109, off, s33 offset:132
	;; [unrolled: 1-line block ×32, first 2 shown]
	s_clause 0x6
	scratch_load_b32 v46, off, s33 offset:256
	scratch_load_b32 v45, off, s33 offset:260
	;; [unrolled: 1-line block ×7, first 2 shown]
	v_readlane_b32 s30, v175, 9
	v_readlane_b32 s31, v175, 10
	;; [unrolled: 1-line block ×11, first 2 shown]
	s_mov_b32 s32, s33
	v_readlane_b32 s0, v175, 11
	s_or_saveexec_b32 s1, -1
	scratch_load_b32 v175, off, s33 offset:284 ; 4-byte Folded Reload
	s_wait_alu 0xfffe
	s_mov_b32 exec_lo, s1
	s_mov_b32 s33, s0
	s_wait_loadcnt_dscnt 0x0
	s_wait_alu 0xfffe
	s_setpc_b64 s[30:31]
.Lfunc_end6:
	.size	_ZN12_GLOBAL__N_17runRingI14__hip_fp8_e5m28FuncProdIS1_E11ProtoSimpleILi2ELi2ELi0ELi4ELi0ELi0EELi0ELi0ELi4ELi0EEEviiP15ncclDevWorkColl, .Lfunc_end6-_ZN12_GLOBAL__N_17runRingI14__hip_fp8_e5m28FuncProdIS1_E11ProtoSimpleILi2ELi2ELi0ELi4ELi0ELi0EELi0ELi0ELi4ELi0EEEviiP15ncclDevWorkColl
                                        ; -- End function
	.set .L_ZN12_GLOBAL__N_17runRingI14__hip_fp8_e5m28FuncProdIS1_E11ProtoSimpleILi2ELi2ELi0ELi4ELi0ELi0EELi0ELi0ELi4ELi0EEEviiP15ncclDevWorkColl.num_vgpr, max(184, .L__assert_fail.num_vgpr)
	.set .L_ZN12_GLOBAL__N_17runRingI14__hip_fp8_e5m28FuncProdIS1_E11ProtoSimpleILi2ELi2ELi0ELi4ELi0ELi0EELi0ELi0ELi4ELi0EEEviiP15ncclDevWorkColl.num_agpr, max(0, .L__assert_fail.num_agpr)
	.set .L_ZN12_GLOBAL__N_17runRingI14__hip_fp8_e5m28FuncProdIS1_E11ProtoSimpleILi2ELi2ELi0ELi4ELi0ELi0EELi0ELi0ELi4ELi0EEEviiP15ncclDevWorkColl.numbered_sgpr, max(96, .L__assert_fail.numbered_sgpr)
	.set .L_ZN12_GLOBAL__N_17runRingI14__hip_fp8_e5m28FuncProdIS1_E11ProtoSimpleILi2ELi2ELi0ELi4ELi0ELi0EELi0ELi0ELi4ELi0EEEviiP15ncclDevWorkColl.num_named_barrier, max(0, .L__assert_fail.num_named_barrier)
	.set .L_ZN12_GLOBAL__N_17runRingI14__hip_fp8_e5m28FuncProdIS1_E11ProtoSimpleILi2ELi2ELi0ELi4ELi0ELi0EELi0ELi0ELi4ELi0EEEviiP15ncclDevWorkColl.private_seg_size, 304+max(.L__assert_fail.private_seg_size)
	.set .L_ZN12_GLOBAL__N_17runRingI14__hip_fp8_e5m28FuncProdIS1_E11ProtoSimpleILi2ELi2ELi0ELi4ELi0ELi0EELi0ELi0ELi4ELi0EEEviiP15ncclDevWorkColl.uses_vcc, or(1, .L__assert_fail.uses_vcc)
	.set .L_ZN12_GLOBAL__N_17runRingI14__hip_fp8_e5m28FuncProdIS1_E11ProtoSimpleILi2ELi2ELi0ELi4ELi0ELi0EELi0ELi0ELi4ELi0EEEviiP15ncclDevWorkColl.uses_flat_scratch, or(1, .L__assert_fail.uses_flat_scratch)
	.set .L_ZN12_GLOBAL__N_17runRingI14__hip_fp8_e5m28FuncProdIS1_E11ProtoSimpleILi2ELi2ELi0ELi4ELi0ELi0EELi0ELi0ELi4ELi0EEEviiP15ncclDevWorkColl.has_dyn_sized_stack, or(0, .L__assert_fail.has_dyn_sized_stack)
	.set .L_ZN12_GLOBAL__N_17runRingI14__hip_fp8_e5m28FuncProdIS1_E11ProtoSimpleILi2ELi2ELi0ELi4ELi0ELi0EELi0ELi0ELi4ELi0EEEviiP15ncclDevWorkColl.has_recursion, or(1, .L__assert_fail.has_recursion)
	.set .L_ZN12_GLOBAL__N_17runRingI14__hip_fp8_e5m28FuncProdIS1_E11ProtoSimpleILi2ELi2ELi0ELi4ELi0ELi0EELi0ELi0ELi4ELi0EEEviiP15ncclDevWorkColl.has_indirect_call, or(0, .L__assert_fail.has_indirect_call)
	.section	.AMDGPU.csdata,"",@progbits
; Function info:
; codeLenInByte = 87244
; TotalNumSgprs: 98
; NumVgprs: 184
; ScratchSize: 368
; MemoryBound: 1
	.text
	.p2align	2                               ; -- Begin function _Z51ncclDevFunc_AllReduce_RING_SIMPLE_Prod_f8e5m2_0_0_4v
	.type	_Z51ncclDevFunc_AllReduce_RING_SIMPLE_Prod_f8e5m2_0_0_4v,@function
_Z51ncclDevFunc_AllReduce_RING_SIMPLE_Prod_f8e5m2_0_0_4v: ; @_Z51ncclDevFunc_AllReduce_RING_SIMPLE_Prod_f8e5m2_0_0_4v
; %bb.0:
	s_wait_loadcnt_dscnt 0x0
	s_wait_expcnt 0x0
	s_wait_samplecnt 0x0
	s_wait_bvhcnt 0x0
	s_wait_kmcnt 0x0
	s_mov_b32 s0, s33
	s_mov_b32 s33, s32
	s_or_saveexec_b32 s1, -1
	scratch_store_b32 off, v42, s33 offset:12 ; 4-byte Folded Spill
	s_wait_alu 0xfffe
	s_mov_b32 exec_lo, s1
	v_writelane_b32 v42, s0, 16
	s_add_co_i32 s32, s32, 32
	s_clause 0x2
	scratch_store_b32 off, v40, s33 offset:8
	; meta instruction
	scratch_store_b32 off, v41, s33 offset:4
	; meta instruction
	scratch_store_b32 off, v175, s33
	v_writelane_b32 v42, s34, 0
	v_writelane_b32 v42, s35, 1
	;; [unrolled: 1-line block ×16, first 2 shown]
	s_trap 2
	ds_load_b32 v0, v0
	v_mov_b32_e32 v40, v31
	s_mov_b32 s51, s12
	s_mov_b64 s[52:53], s[8:9]
	s_wait_dscnt 0x0
	v_cmp_gt_i32_e32 vcc_lo, 1, v0
	s_cbranch_vccnz .LBB7_8
; %bb.1:
	v_and_b32_e32 v41, 0x3ff, v40
	s_mov_b32 s54, 0
	s_branch .LBB7_3
.LBB7_2:                                ;   in Loop: Header=BB7_3 Depth=1
	s_wait_alu 0xfffe
	s_or_b32 exec_lo, exec_lo, s55
	s_trap 2
	ds_load_b32 v0, v0
	s_add_co_i32 s54, s54, 1
	s_wait_dscnt 0x0
	s_wait_alu 0xfffe
	v_cmp_lt_i32_e32 vcc_lo, s54, v0
	s_cbranch_vccz .LBB7_8
.LBB7_3:                                ; =>This Inner Loop Header: Depth=1
	s_trap 2
	ds_load_b32 v0, v0
	s_wait_alu 0xfffe
	s_cmp_eq_u32 s54, 0
	s_cbranch_scc1 .LBB7_6
; %bb.4:                                ;   in Loop: Header=BB7_3 Depth=1
	s_trap 2
	s_wait_dscnt 0x0
	ds_load_b32 v1, v0
	s_wait_dscnt 0x0
	v_xor_b32_e32 v1, v1, v0
	s_delay_alu instid0(VALU_DEP_1) | instskip(NEXT) | instid1(VALU_DEP_1)
	v_and_b32_e32 v1, 0xff0000, v1
	v_cmp_eq_u32_e32 vcc_lo, 0, v1
	s_cbranch_vccnz .LBB7_6
; %bb.5:                                ;   in Loop: Header=BB7_3 Depth=1
	s_wait_storecnt 0x0
	s_barrier_signal -1
	s_barrier_wait -1
	global_inv scope:SCOPE_SE
	ds_load_b32 v0, v0
.LBB7_6:                                ;   in Loop: Header=BB7_3 Depth=1
	s_wait_dscnt 0x0
	v_lshrrev_b32_e32 v0, 11, v0
	s_mov_b32 s55, exec_lo
	s_delay_alu instid0(VALU_DEP_1) | instskip(NEXT) | instid1(VALU_DEP_1)
	v_and_b32_e32 v1, 0x1fe0, v0
	v_cmpx_lt_u32_e64 v41, v1
	s_cbranch_execz .LBB7_2
; %bb.7:                                ;   in Loop: Header=BB7_3 Depth=1
	s_mov_b64 s[0:1], src_shared_base
	v_dual_mov_b32 v31, v40 :: v_dual_mov_b32 v0, v41
	s_wait_alu 0xfffe
	v_mov_b32_e32 v3, s1
	s_getpc_b64 s[2:3]
	s_wait_alu 0xfffe
	s_sext_i32_i16 s3, s3
	s_add_co_u32 s2, s2, _ZN12_GLOBAL__N_17runRingI14__hip_fp8_e5m28FuncProdIS1_E11ProtoSimpleILi2ELi2ELi0ELi4ELi0ELi0EELi0ELi0ELi4ELi0EEEviiP15ncclDevWorkColl@rel32@lo+12
	s_wait_alu 0xfffe
	s_add_co_ci_u32 s3, s3, _ZN12_GLOBAL__N_17runRingI14__hip_fp8_e5m28FuncProdIS1_E11ProtoSimpleILi2ELi2ELi0ELi4ELi0ELi0EELi0ELi0ELi4ELi0EEEviiP15ncclDevWorkColl@rel32@hi+24
	s_mov_b64 s[8:9], s[52:53]
	s_mov_b32 s12, s51
	s_wait_alu 0xfffe
	s_swappc_b64 s[30:31], s[2:3]
	s_branch .LBB7_2
.LBB7_8:
	s_clause 0x2
	scratch_load_b32 v175, off, s33
	scratch_load_b32 v41, off, s33 offset:4
	scratch_load_b32 v40, off, s33 offset:8
	v_readlane_b32 s30, v42, 14
	v_readlane_b32 s31, v42, 15
	v_readlane_b32 s55, v42, 13
	v_readlane_b32 s54, v42, 12
	v_readlane_b32 s53, v42, 11
	v_readlane_b32 s52, v42, 10
	v_readlane_b32 s51, v42, 9
	v_readlane_b32 s50, v42, 8
	v_readlane_b32 s49, v42, 7
	v_readlane_b32 s48, v42, 6
	v_readlane_b32 s39, v42, 5
	v_readlane_b32 s38, v42, 4
	v_readlane_b32 s37, v42, 3
	v_readlane_b32 s36, v42, 2
	v_readlane_b32 s35, v42, 1
	v_readlane_b32 s34, v42, 0
	s_mov_b32 s32, s33
	v_readlane_b32 s0, v42, 16
	s_or_saveexec_b32 s1, -1
	scratch_load_b32 v42, off, s33 offset:12 ; 4-byte Folded Reload
	s_wait_alu 0xfffe
	s_mov_b32 exec_lo, s1
	s_mov_b32 s33, s0
	s_wait_loadcnt 0x0
	s_wait_alu 0xfffe
	s_setpc_b64 s[30:31]
.Lfunc_end7:
	.size	_Z51ncclDevFunc_AllReduce_RING_SIMPLE_Prod_f8e5m2_0_0_4v, .Lfunc_end7-_Z51ncclDevFunc_AllReduce_RING_SIMPLE_Prod_f8e5m2_0_0_4v
                                        ; -- End function
	.set .L_Z51ncclDevFunc_AllReduce_RING_SIMPLE_Prod_f8e5m2_0_0_4v.num_vgpr, max(176, .L_ZN12_GLOBAL__N_17runRingI14__hip_fp8_e5m28FuncProdIS1_E11ProtoSimpleILi2ELi2ELi0ELi4ELi0ELi0EELi0ELi0ELi4ELi0EEEviiP15ncclDevWorkColl.num_vgpr)
	.set .L_Z51ncclDevFunc_AllReduce_RING_SIMPLE_Prod_f8e5m2_0_0_4v.num_agpr, max(0, .L_ZN12_GLOBAL__N_17runRingI14__hip_fp8_e5m28FuncProdIS1_E11ProtoSimpleILi2ELi2ELi0ELi4ELi0ELi0EELi0ELi0ELi4ELi0EEEviiP15ncclDevWorkColl.num_agpr)
	.set .L_Z51ncclDevFunc_AllReduce_RING_SIMPLE_Prod_f8e5m2_0_0_4v.numbered_sgpr, max(56, .L_ZN12_GLOBAL__N_17runRingI14__hip_fp8_e5m28FuncProdIS1_E11ProtoSimpleILi2ELi2ELi0ELi4ELi0ELi0EELi0ELi0ELi4ELi0EEEviiP15ncclDevWorkColl.numbered_sgpr)
	.set .L_Z51ncclDevFunc_AllReduce_RING_SIMPLE_Prod_f8e5m2_0_0_4v.num_named_barrier, max(0, .L_ZN12_GLOBAL__N_17runRingI14__hip_fp8_e5m28FuncProdIS1_E11ProtoSimpleILi2ELi2ELi0ELi4ELi0ELi0EELi0ELi0ELi4ELi0EEEviiP15ncclDevWorkColl.num_named_barrier)
	.set .L_Z51ncclDevFunc_AllReduce_RING_SIMPLE_Prod_f8e5m2_0_0_4v.private_seg_size, 32+max(.L_ZN12_GLOBAL__N_17runRingI14__hip_fp8_e5m28FuncProdIS1_E11ProtoSimpleILi2ELi2ELi0ELi4ELi0ELi0EELi0ELi0ELi4ELi0EEEviiP15ncclDevWorkColl.private_seg_size)
	.set .L_Z51ncclDevFunc_AllReduce_RING_SIMPLE_Prod_f8e5m2_0_0_4v.uses_vcc, or(1, .L_ZN12_GLOBAL__N_17runRingI14__hip_fp8_e5m28FuncProdIS1_E11ProtoSimpleILi2ELi2ELi0ELi4ELi0ELi0EELi0ELi0ELi4ELi0EEEviiP15ncclDevWorkColl.uses_vcc)
	.set .L_Z51ncclDevFunc_AllReduce_RING_SIMPLE_Prod_f8e5m2_0_0_4v.uses_flat_scratch, or(1, .L_ZN12_GLOBAL__N_17runRingI14__hip_fp8_e5m28FuncProdIS1_E11ProtoSimpleILi2ELi2ELi0ELi4ELi0ELi0EELi0ELi0ELi4ELi0EEEviiP15ncclDevWorkColl.uses_flat_scratch)
	.set .L_Z51ncclDevFunc_AllReduce_RING_SIMPLE_Prod_f8e5m2_0_0_4v.has_dyn_sized_stack, or(0, .L_ZN12_GLOBAL__N_17runRingI14__hip_fp8_e5m28FuncProdIS1_E11ProtoSimpleILi2ELi2ELi0ELi4ELi0ELi0EELi0ELi0ELi4ELi0EEEviiP15ncclDevWorkColl.has_dyn_sized_stack)
	.set .L_Z51ncclDevFunc_AllReduce_RING_SIMPLE_Prod_f8e5m2_0_0_4v.has_recursion, or(1, .L_ZN12_GLOBAL__N_17runRingI14__hip_fp8_e5m28FuncProdIS1_E11ProtoSimpleILi2ELi2ELi0ELi4ELi0ELi0EELi0ELi0ELi4ELi0EEEviiP15ncclDevWorkColl.has_recursion)
	.set .L_Z51ncclDevFunc_AllReduce_RING_SIMPLE_Prod_f8e5m2_0_0_4v.has_indirect_call, or(0, .L_ZN12_GLOBAL__N_17runRingI14__hip_fp8_e5m28FuncProdIS1_E11ProtoSimpleILi2ELi2ELi0ELi4ELi0ELi0EELi0ELi0ELi4ELi0EEEviiP15ncclDevWorkColl.has_indirect_call)
	.section	.AMDGPU.csdata,"",@progbits
; Function info:
; codeLenInByte = 752
; TotalNumSgprs: 98
; NumVgprs: 184
; ScratchSize: 400
; MemoryBound: 0
	.text
	.p2alignl 7, 3214868480
	.fill 96, 4, 3214868480
	.section	.AMDGPU.gpr_maximums,"",@progbits
	.set amdgpu.max_num_vgpr, 184
	.set amdgpu.max_num_agpr, 0
	.set amdgpu.max_num_sgpr, 96
	.text
	.type	__const.__assert_fail.fmt,@object ; @__const.__assert_fail.fmt
	.section	.rodata.str1.16,"aMS",@progbits,1
	.p2align	4, 0x0
__const.__assert_fail.fmt:
	.asciz	"%s:%u: %s: Device-side assertion `%s' failed.\n"
	.size	__const.__assert_fail.fmt, 47

	.type	.str.3,@object                  ; @.str.3
	.section	.rodata.str1.1,"aMS",@progbits,1
.str.3:
	.asciz	"2*(nrecv+nsend) <= nthreads"
	.size	.str.3, 28

	.type	.str.4,@object                  ; @.str.4
.str.4:
	.asciz	"/root/src/amdgpu-assembly/repos/ROCm__rccl/hipify/src/device/prims_simple.h"
	.size	.str.4, 76

	.type	__PRETTY_FUNCTION__._ZN10PrimitivesI14__hip_fp8_e5m28FuncProdIS0_E12FanSymmetricILi1EELi0E11ProtoSimpleILi2ELi2ELi0ELi1ELi0ELi0EELi0ELb0ELi0ELi0ELi0EEC2EiiPKiS9_PKvPvmhhhP15ncclDevWorkCollP14ncclDevWorkP2pii,@object ; @__PRETTY_FUNCTION__._ZN10PrimitivesI14__hip_fp8_e5m28FuncProdIS0_E12FanSymmetricILi1EELi0E11ProtoSimpleILi2ELi2ELi0ELi1ELi0ELi0EELi0ELb0ELi0ELi0ELi0EEC2EiiPKiS9_PKvPvmhhhP15ncclDevWorkCollP14ncclDevWorkP2pii
__PRETTY_FUNCTION__._ZN10PrimitivesI14__hip_fp8_e5m28FuncProdIS0_E12FanSymmetricILi1EELi0E11ProtoSimpleILi2ELi2ELi0ELi1ELi0ELi0EELi0ELb0ELi0ELi0ELi0EEC2EiiPKiS9_PKvPvmhhhP15ncclDevWorkCollP14ncclDevWorkP2pii:
	.asciz	"Primitives<__hip_fp8_e5m2, FuncProd<__hip_fp8_e5m2>, FanSymmetric<1>, 0, ProtoSimple<2, 2, 0, 1>, 0>::Primitives(int, int, const int *, const int *, const void *, void *, uint64_t, uint8_t, uint8_t, uint8_t, struct ncclDevWorkColl *, struct ncclDevWorkP2p *, int, int) [T = __hip_fp8_e5m2, RedOp = FuncProd<__hip_fp8_e5m2>, Fan = FanSymmetric<1>, Direct = 0, Proto = ProtoSimple<2, 2, 0, 1>, P2p = 0, isNetOffload = false, Metadata = 0, Pipeline = 0, useAcc = 0]"
	.size	__PRETTY_FUNCTION__._ZN10PrimitivesI14__hip_fp8_e5m28FuncProdIS0_E12FanSymmetricILi1EELi0E11ProtoSimpleILi2ELi2ELi0ELi1ELi0ELi0EELi0ELb0ELi0ELi0ELi0EEC2EiiPKiS9_PKvPvmhhhP15ncclDevWorkCollP14ncclDevWorkP2pii, 463

	.type	__PRETTY_FUNCTION__._ZN10PrimitivesI14__hip_fp8_e5m28FuncProdIS0_E12FanSymmetricILi1EELi0E11ProtoSimpleILi2ELi2ELi0ELi2ELi0ELi0EELi0ELb0ELi0ELi0ELi0EEC2EiiPKiS9_PKvPvmhhhP15ncclDevWorkCollP14ncclDevWorkP2pii,@object ; @__PRETTY_FUNCTION__._ZN10PrimitivesI14__hip_fp8_e5m28FuncProdIS0_E12FanSymmetricILi1EELi0E11ProtoSimpleILi2ELi2ELi0ELi2ELi0ELi0EELi0ELb0ELi0ELi0ELi0EEC2EiiPKiS9_PKvPvmhhhP15ncclDevWorkCollP14ncclDevWorkP2pii
__PRETTY_FUNCTION__._ZN10PrimitivesI14__hip_fp8_e5m28FuncProdIS0_E12FanSymmetricILi1EELi0E11ProtoSimpleILi2ELi2ELi0ELi2ELi0ELi0EELi0ELb0ELi0ELi0ELi0EEC2EiiPKiS9_PKvPvmhhhP15ncclDevWorkCollP14ncclDevWorkP2pii:
	.asciz	"Primitives<__hip_fp8_e5m2, FuncProd<__hip_fp8_e5m2>, FanSymmetric<1>, 0, ProtoSimple<2, 2, 0, 2>, 0>::Primitives(int, int, const int *, const int *, const void *, void *, uint64_t, uint8_t, uint8_t, uint8_t, struct ncclDevWorkColl *, struct ncclDevWorkP2p *, int, int) [T = __hip_fp8_e5m2, RedOp = FuncProd<__hip_fp8_e5m2>, Fan = FanSymmetric<1>, Direct = 0, Proto = ProtoSimple<2, 2, 0, 2>, P2p = 0, isNetOffload = false, Metadata = 0, Pipeline = 0, useAcc = 0]"
	.size	__PRETTY_FUNCTION__._ZN10PrimitivesI14__hip_fp8_e5m28FuncProdIS0_E12FanSymmetricILi1EELi0E11ProtoSimpleILi2ELi2ELi0ELi2ELi0ELi0EELi0ELb0ELi0ELi0ELi0EEC2EiiPKiS9_PKvPvmhhhP15ncclDevWorkCollP14ncclDevWorkP2pii, 463

	.type	__PRETTY_FUNCTION__._ZN10PrimitivesI14__hip_fp8_e5m28FuncProdIS0_E12FanSymmetricILi1EELi0E11ProtoSimpleILi2ELi2ELi0ELi4ELi0ELi0EELi0ELb0ELi0ELi0ELi0EEC2EiiPKiS9_PKvPvmhhhP15ncclDevWorkCollP14ncclDevWorkP2pii,@object ; @__PRETTY_FUNCTION__._ZN10PrimitivesI14__hip_fp8_e5m28FuncProdIS0_E12FanSymmetricILi1EELi0E11ProtoSimpleILi2ELi2ELi0ELi4ELi0ELi0EELi0ELb0ELi0ELi0ELi0EEC2EiiPKiS9_PKvPvmhhhP15ncclDevWorkCollP14ncclDevWorkP2pii
__PRETTY_FUNCTION__._ZN10PrimitivesI14__hip_fp8_e5m28FuncProdIS0_E12FanSymmetricILi1EELi0E11ProtoSimpleILi2ELi2ELi0ELi4ELi0ELi0EELi0ELb0ELi0ELi0ELi0EEC2EiiPKiS9_PKvPvmhhhP15ncclDevWorkCollP14ncclDevWorkP2pii:
	.asciz	"Primitives<__hip_fp8_e5m2, FuncProd<__hip_fp8_e5m2>, FanSymmetric<1>, 0, ProtoSimple<2, 2, 0, 4>, 0>::Primitives(int, int, const int *, const int *, const void *, void *, uint64_t, uint8_t, uint8_t, uint8_t, struct ncclDevWorkColl *, struct ncclDevWorkP2p *, int, int) [T = __hip_fp8_e5m2, RedOp = FuncProd<__hip_fp8_e5m2>, Fan = FanSymmetric<1>, Direct = 0, Proto = ProtoSimple<2, 2, 0, 4>, P2p = 0, isNetOffload = false, Metadata = 0, Pipeline = 0, useAcc = 0]"
	.size	__PRETTY_FUNCTION__._ZN10PrimitivesI14__hip_fp8_e5m28FuncProdIS0_E12FanSymmetricILi1EELi0E11ProtoSimpleILi2ELi2ELi0ELi4ELi0ELi0EELi0ELb0ELi0ELi0ELi0EEC2EiiPKiS9_PKvPvmhhhP15ncclDevWorkCollP14ncclDevWorkP2pii, 463

	.type	__hip_cuid_a3b45b4fd468507f,@object ; @__hip_cuid_a3b45b4fd468507f
	.section	.bss,"aw",@nobits
	.globl	__hip_cuid_a3b45b4fd468507f
__hip_cuid_a3b45b4fd468507f:
	.byte	0                               ; 0x0
	.size	__hip_cuid_a3b45b4fd468507f, 1

	.ident	"AMD clang version 22.0.0git (https://github.com/RadeonOpenCompute/llvm-project roc-7.2.4 26084 f58b06dce1f9c15707c5f808fd002e18c2accf7e)"
	.section	".note.GNU-stack","",@progbits
	.addrsig
	.addrsig_sym _Z51ncclDevFunc_AllReduce_RING_SIMPLE_Prod_f8e5m2_0_0_1v
	.addrsig_sym _Z51ncclDevFunc_AllReduce_RING_SIMPLE_Prod_f8e5m2_0_0_2v
	.addrsig_sym _Z51ncclDevFunc_AllReduce_RING_SIMPLE_Prod_f8e5m2_0_0_4v
	.addrsig_sym ncclShmem
	.addrsig_sym __hip_cuid_a3b45b4fd468507f
	.amdgpu_metadata
---
amdhsa.kernels:  []
amdhsa.target:   amdgcn-amd-amdhsa--gfx1201
amdhsa.version:
  - 1
  - 2
...

	.end_amdgpu_metadata
